;; amdgpu-corpus repo=ROCm/rocFFT kind=compiled arch=gfx1100 opt=O3
	.text
	.amdgcn_target "amdgcn-amd-amdhsa--gfx1100"
	.amdhsa_code_object_version 6
	.protected	bluestein_single_back_len1092_dim1_dp_op_CI_CI ; -- Begin function bluestein_single_back_len1092_dim1_dp_op_CI_CI
	.globl	bluestein_single_back_len1092_dim1_dp_op_CI_CI
	.p2align	8
	.type	bluestein_single_back_len1092_dim1_dp_op_CI_CI,@function
bluestein_single_back_len1092_dim1_dp_op_CI_CI: ; @bluestein_single_back_len1092_dim1_dp_op_CI_CI
; %bb.0:
	s_load_b128 s[8:11], s[0:1], 0x28
	v_mul_u32_u24_e32 v1, 0x4ed, v0
	s_mov_b32 s2, exec_lo
	v_mov_b32_e32 v8, 0
	s_delay_alu instid0(VALU_DEP_2) | instskip(NEXT) | instid1(VALU_DEP_1)
	v_lshrrev_b32_e32 v1, 16, v1
	v_add_nc_u32_e32 v7, s15, v1
	s_waitcnt lgkmcnt(0)
	s_delay_alu instid0(VALU_DEP_1)
	v_cmpx_gt_u64_e64 s[8:9], v[7:8]
	s_cbranch_execz .LBB0_31
; %bb.1:
	s_clause 0x1
	s_load_b128 s[4:7], s[0:1], 0x18
	s_load_b64 s[2:3], s[0:1], 0x0
	v_mul_lo_u16 v1, v1, 52
	s_delay_alu instid0(VALU_DEP_1) | instskip(NEXT) | instid1(VALU_DEP_1)
	v_sub_nc_u16 v2, v0, v1
	v_and_b32_e32 v186, 0xffff, v2
	s_delay_alu instid0(VALU_DEP_1)
	v_lshlrev_b32_e32 v88, 4, v186
	s_waitcnt lgkmcnt(0)
	s_load_b128 s[12:15], s[4:5], 0x0
	s_clause 0x4
	global_load_b128 v[117:120], v88, s[2:3]
	global_load_b128 v[187:190], v88, s[2:3] offset:832
	global_load_b128 v[207:210], v88, s[2:3] offset:1664
	;; [unrolled: 1-line block ×4, first 2 shown]
	v_add_co_u32 v8, s4, s2, v88
	s_delay_alu instid0(VALU_DEP_1) | instskip(NEXT) | instid1(VALU_DEP_2)
	v_add_co_ci_u32_e64 v9, null, s3, 0, s4
	v_add_co_u32 v5, vcc_lo, 0x2000, v8
	s_delay_alu instid0(VALU_DEP_2)
	v_add_co_ci_u32_e32 v6, vcc_lo, 0, v9, vcc_lo
	s_clause 0x1
	scratch_store_b32 off, v8, off offset:132
	scratch_store_b32 off, v9, off offset:140
	s_clause 0x3
	global_load_b128 v[235:238], v[5:6], off offset:544
	global_load_b128 v[231:234], v[5:6], off offset:1376
	;; [unrolled: 1-line block ×4, first 2 shown]
	scratch_store_b64 off, v[5:6], off offset:196 ; 8-byte Folded Spill
	global_load_b128 v[165:168], v[5:6], off offset:3872
	v_mov_b32_e32 v5, v7
	v_add_co_u32 v75, vcc_lo, 0x1000, v8
	s_waitcnt lgkmcnt(0)
	v_mad_u64_u32 v[0:1], null, s14, v7, 0
	v_mad_u64_u32 v[3:4], null, s12, v186, 0
	scratch_store_b64 off, v[5:6], off offset:204 ; 8-byte Folded Spill
	v_add_co_ci_u32_e32 v76, vcc_lo, 0, v9, vcc_lo
	v_add_co_u32 v79, vcc_lo, 0x3000, v8
	v_mad_u64_u32 v[5:6], null, s15, v7, v[1:2]
	v_add_co_ci_u32_e32 v80, vcc_lo, 0, v9, vcc_lo
	s_mul_i32 s3, s13, 0x222
	s_mul_hi_u32 s5, s12, 0x222
	s_mul_i32 s2, s12, 0x222
	s_add_i32 s3, s5, s3
	s_delay_alu instid0(VALU_DEP_2)
	v_mad_u64_u32 v[6:7], null, s13, v186, v[4:5]
	v_mov_b32_e32 v1, v5
	s_mul_hi_u32 s9, s12, 0xfffffe12
	s_mul_i32 s8, s13, 0xfffffe12
	s_sub_i32 s5, s9, s12
	s_mul_i32 s4, s12, 0xfffffe12
	v_lshlrev_b64 v[0:1], 4, v[0:1]
	s_delay_alu instid0(VALU_DEP_3)
	v_mov_b32_e32 v4, v6
	s_add_i32 s5, s5, s8
	s_clause 0x5
	global_load_b128 v[161:164], v[75:76], off offset:64
	global_load_b128 v[169:172], v[75:76], off offset:896
	;; [unrolled: 1-line block ×6, first 2 shown]
	v_lshlrev_b64 v[3:4], 4, v[3:4]
	v_add_co_u32 v0, vcc_lo, s10, v0
	v_add_co_ci_u32_e32 v1, vcc_lo, s11, v1, vcc_lo
	s_lshl_b64 s[10:11], s[2:3], 4
	s_delay_alu instid0(VALU_DEP_2) | instskip(NEXT) | instid1(VALU_DEP_2)
	v_add_co_u32 v0, vcc_lo, v0, v3
	v_add_co_ci_u32_e32 v1, vcc_lo, v1, v4, vcc_lo
	s_lshl_b64 s[2:3], s[4:5], 4
	s_delay_alu instid0(VALU_DEP_2) | instskip(NEXT) | instid1(VALU_DEP_2)
	v_add_co_u32 v7, vcc_lo, v0, s10
	v_add_co_ci_u32_e32 v8, vcc_lo, s11, v1, vcc_lo
	s_clause 0x1
	global_load_b128 v[199:202], v[79:80], off offset:2272
	global_load_b128 v[211:214], v[79:80], off offset:3104
	v_add_co_u32 v11, vcc_lo, v7, s2
	v_add_co_ci_u32_e32 v12, vcc_lo, s3, v8, vcc_lo
	s_clause 0x1
	global_load_b128 v[3:6], v[0:1], off
	global_load_b128 v[7:10], v[7:8], off
	v_add_co_u32 v15, vcc_lo, v11, s10
	v_add_co_ci_u32_e32 v16, vcc_lo, s11, v12, vcc_lo
	s_delay_alu instid0(VALU_DEP_2) | instskip(NEXT) | instid1(VALU_DEP_2)
	v_add_co_u32 v19, vcc_lo, v15, s2
	v_add_co_ci_u32_e32 v20, vcc_lo, s3, v16, vcc_lo
	s_clause 0x1
	global_load_b128 v[11:14], v[11:12], off
	global_load_b128 v[15:18], v[15:16], off
	v_add_co_u32 v0, vcc_lo, v19, s10
	v_add_co_ci_u32_e32 v1, vcc_lo, s11, v20, vcc_lo
	global_load_b128 v[19:22], v[19:20], off
	v_add_co_u32 v27, vcc_lo, v0, s2
	v_add_co_ci_u32_e32 v28, vcc_lo, s3, v1, vcc_lo
	;; [unrolled: 3-line block ×14, first 2 shown]
	s_delay_alu instid0(VALU_DEP_2) | instskip(NEXT) | instid1(VALU_DEP_2)
	v_add_co_u32 v0, vcc_lo, v77, s10
	v_add_co_ci_u32_e32 v1, vcc_lo, s11, v78, vcc_lo
	global_load_b128 v[71:74], v[71:72], off
	global_load_b128 v[219:222], v[75:76], off offset:3392
	global_load_b128 v[75:78], v[77:78], off
	global_load_b128 v[223:226], v[79:80], off offset:3936
	global_load_b128 v[79:82], v[0:1], off
	v_cmp_gt_u16_e32 vcc_lo, 26, v2
	s_waitcnt vmcnt(39)
	scratch_store_b128 off, v[117:120], off offset:244 ; 16-byte Folded Spill
	s_waitcnt vmcnt(38)
	scratch_store_b128 off, v[187:190], off offset:324 ; 16-byte Folded Spill
	;; [unrolled: 2-line block ×12, first 2 shown]
	s_waitcnt vmcnt(26)
	s_clause 0x1
	scratch_store_b128 off, v[177:180], off offset:292
	scratch_store_b128 off, v[169:172], off offset:260
	s_waitcnt vmcnt(25)
	scratch_store_b128 off, v[181:184], off offset:308 ; 16-byte Folded Spill
	s_waitcnt vmcnt(24)
	scratch_store_b128 off, v[195:198], off offset:356 ; 16-byte Folded Spill
	;; [unrolled: 2-line block ×4, first 2 shown]
	s_waitcnt vmcnt(21)
	v_mul_f64 v[83:84], v[5:6], v[119:120]
	v_mul_f64 v[85:86], v[3:4], v[119:120]
	s_waitcnt vmcnt(20)
	v_mul_f64 v[89:90], v[9:10], v[237:238]
	v_mul_f64 v[91:92], v[7:8], v[237:238]
	;; [unrolled: 3-line block ×8, first 2 shown]
	v_fma_f64 v[3:4], v[3:4], v[117:118], v[83:84]
	v_fma_f64 v[5:6], v[5:6], v[117:118], -v[85:86]
	s_waitcnt vmcnt(13)
	v_mul_f64 v[83:84], v[37:38], v[205:206]
	v_mul_f64 v[85:86], v[35:36], v[205:206]
	s_waitcnt vmcnt(12)
	v_mul_f64 v[117:118], v[41:42], v[167:168]
	v_mul_f64 v[119:120], v[39:40], v[167:168]
	v_fma_f64 v[7:8], v[7:8], v[235:236], v[89:90]
	v_fma_f64 v[9:10], v[9:10], v[235:236], -v[91:92]
	s_waitcnt vmcnt(11)
	v_mul_f64 v[121:122], v[45:46], v[163:164]
	v_mul_f64 v[123:124], v[43:44], v[163:164]
	v_fma_f64 v[11:12], v[11:12], v[187:188], v[93:94]
	v_fma_f64 v[13:14], v[13:14], v[187:188], -v[95:96]
	v_fma_f64 v[15:16], v[15:16], v[231:232], v[97:98]
	s_waitcnt vmcnt(10)
	v_mul_f64 v[125:126], v[49:50], v[175:176]
	v_mul_f64 v[127:128], v[47:48], v[175:176]
	v_fma_f64 v[17:18], v[17:18], v[231:232], -v[99:100]
	v_fma_f64 v[19:20], v[19:20], v[207:208], v[101:102]
	v_fma_f64 v[21:22], v[21:22], v[207:208], -v[103:104]
	s_waitcnt vmcnt(9)
	v_mul_f64 v[129:130], v[53:54], v[171:172]
	v_mul_f64 v[131:132], v[51:52], v[171:172]
	v_fma_f64 v[23:24], v[23:24], v[227:228], v[105:106]
	v_fma_f64 v[25:26], v[25:26], v[227:228], -v[107:108]
	s_waitcnt vmcnt(8)
	v_mul_f64 v[133:134], v[57:58], v[179:180]
	v_mul_f64 v[135:136], v[55:56], v[179:180]
	;; [unrolled: 5-line block ×4, first 2 shown]
	s_waitcnt vmcnt(5)
	v_mul_f64 v[145:146], v[69:70], v[197:198]
	v_mul_f64 v[147:148], v[67:68], v[197:198]
	v_fma_f64 v[35:36], v[35:36], v[203:204], v[83:84]
	v_fma_f64 v[37:38], v[37:38], v[203:204], -v[85:86]
	v_fma_f64 v[39:40], v[39:40], v[165:166], v[117:118]
	v_fma_f64 v[41:42], v[41:42], v[165:166], -v[119:120]
	s_waitcnt vmcnt(4)
	v_mul_f64 v[149:150], v[73:74], v[213:214]
	v_mul_f64 v[151:152], v[71:72], v[213:214]
	s_waitcnt vmcnt(2)
	v_mul_f64 v[153:154], v[77:78], v[221:222]
	v_mul_f64 v[155:156], v[75:76], v[221:222]
	s_waitcnt vmcnt(0)
	v_mul_f64 v[157:158], v[81:82], v[225:226]
	v_mul_f64 v[159:160], v[79:80], v[225:226]
	v_fma_f64 v[43:44], v[43:44], v[161:162], v[121:122]
	v_fma_f64 v[45:46], v[45:46], v[161:162], -v[123:124]
	v_fma_f64 v[47:48], v[47:48], v[173:174], v[125:126]
	v_fma_f64 v[49:50], v[49:50], v[173:174], -v[127:128]
	s_clause 0x1
	scratch_store_b128 off, v[219:222], off offset:452
	scratch_store_b128 off, v[223:226], off offset:468
	v_fma_f64 v[51:52], v[51:52], v[169:170], v[129:130]
	v_fma_f64 v[53:54], v[53:54], v[169:170], -v[131:132]
	s_load_b64 s[8:9], s[0:1], 0x38
	s_load_b128 s[4:7], s[6:7], 0x0
	v_fma_f64 v[55:56], v[55:56], v[177:178], v[133:134]
	v_fma_f64 v[57:58], v[57:58], v[177:178], -v[135:136]
	v_fma_f64 v[59:60], v[59:60], v[181:182], v[137:138]
	v_fma_f64 v[61:62], v[61:62], v[181:182], -v[139:140]
	;; [unrolled: 2-line block ×3, first 2 shown]
	ds_store_b128 v88, v[3:6]
	ds_store_b128 v88, v[11:14] offset:832
	ds_store_b128 v88, v[7:10] offset:8736
	;; [unrolled: 1-line block ×15, first 2 shown]
	v_fma_f64 v[67:68], v[67:68], v[195:196], v[145:146]
	v_fma_f64 v[69:70], v[69:70], v[195:196], -v[147:148]
	v_fma_f64 v[75:76], v[75:76], v[219:220], v[153:154]
	v_fma_f64 v[77:78], v[77:78], v[219:220], -v[155:156]
	v_fma_f64 v[71:72], v[71:72], v[211:212], v[149:150]
	v_fma_f64 v[73:74], v[73:74], v[211:212], -v[151:152]
	v_fma_f64 v[79:80], v[79:80], v[223:224], v[157:158]
	v_fma_f64 v[81:82], v[81:82], v[223:224], -v[159:160]
	ds_store_b128 v88, v[67:70] offset:6656
	ds_store_b128 v88, v[75:78] offset:7488
	;; [unrolled: 1-line block ×4, first 2 shown]
	s_and_saveexec_b32 s12, vcc_lo
	s_cbranch_execz .LBB0_3
; %bb.2:
	scratch_load_b32 v2, off, off offset:132 ; 4-byte Folded Reload
	v_add_co_u32 v0, s2, v0, s2
	s_delay_alu instid0(VALU_DEP_1)
	v_add_co_ci_u32_e64 v1, s2, s3, v1, s2
	s_waitcnt vmcnt(0)
	v_add_co_u32 v8, s2, 0x4000, v2
	scratch_load_b32 v2, off, off offset:140 ; 4-byte Folded Reload
	s_waitcnt vmcnt(0)
	v_add_co_ci_u32_e64 v9, s2, 0, v2, s2
	v_add_co_u32 v12, s2, v0, s10
	s_delay_alu instid0(VALU_DEP_1)
	v_add_co_ci_u32_e64 v13, s2, s11, v1, s2
	global_load_b128 v[0:3], v[0:1], off
	scratch_load_b64 v[4:5], off, off offset:196 ; 8-byte Folded Reload
	s_waitcnt vmcnt(0)
	s_clause 0x1
	global_load_b128 v[4:7], v[4:5], off offset:128
	global_load_b128 v[8:11], v[8:9], off offset:672
	global_load_b128 v[12:15], v[12:13], off
	s_waitcnt vmcnt(2)
	v_mul_f64 v[16:17], v[2:3], v[6:7]
	v_mul_f64 v[6:7], v[0:1], v[6:7]
	s_waitcnt vmcnt(0)
	v_mul_f64 v[18:19], v[14:15], v[10:11]
	v_mul_f64 v[10:11], v[12:13], v[10:11]
	s_delay_alu instid0(VALU_DEP_4) | instskip(NEXT) | instid1(VALU_DEP_4)
	v_fma_f64 v[0:1], v[0:1], v[4:5], v[16:17]
	v_fma_f64 v[2:3], v[2:3], v[4:5], -v[6:7]
	s_delay_alu instid0(VALU_DEP_4) | instskip(NEXT) | instid1(VALU_DEP_4)
	v_fma_f64 v[4:5], v[12:13], v[8:9], v[18:19]
	v_fma_f64 v[6:7], v[14:15], v[8:9], -v[10:11]
	ds_store_b128 v88, v[0:3] offset:8320
	ds_store_b128 v88, v[4:7] offset:17056
.LBB0_3:
	s_or_b32 exec_lo, exec_lo, s12
	s_waitcnt lgkmcnt(0)
	s_waitcnt_vscnt null, 0x0
	s_barrier
	buffer_gl0_inv
	ds_load_b128 v[24:27], v88
	ds_load_b128 v[28:31], v88 offset:832
	ds_load_b128 v[84:87], v88 offset:8736
	;; [unrolled: 1-line block ×19, first 2 shown]
                                        ; implicit-def: $vgpr12_vgpr13
                                        ; implicit-def: $vgpr48_vgpr49
	s_and_saveexec_b32 s2, vcc_lo
	s_cbranch_execz .LBB0_5
; %bb.4:
	ds_load_b128 v[12:15], v88 offset:8320
	ds_load_b128 v[48:51], v88 offset:17056
.LBB0_5:
	s_or_b32 exec_lo, exec_lo, s2
	s_waitcnt lgkmcnt(17)
	v_add_f64 v[84:85], v[24:25], -v[84:85]
	v_add_f64 v[86:87], v[26:27], -v[86:87]
	s_waitcnt lgkmcnt(16)
	v_add_f64 v[80:81], v[28:29], -v[80:81]
	v_add_f64 v[82:83], v[30:31], -v[82:83]
	;; [unrolled: 3-line block ×10, first 2 shown]
	v_add_f64 v[0:1], v[12:13], -v[48:49]
	v_add_f64 v[2:3], v[14:15], -v[50:51]
	v_add_co_u32 v143, null, v186, 52
	s_barrier
	buffer_gl0_inv
	v_lshlrev_b32_e32 v48, 1, v143
	v_lshlrev_b32_e32 v89, 1, v186
	v_add_co_u32 v96, null, 0x68, v186
	s_load_b64 s[2:3], s[0:1], 0x8
	scratch_store_b32 off, v48, off offset:892 ; 4-byte Folded Spill
	v_add_nc_u32_e32 v93, 0x138, v89
	v_add_co_u32 v90, null, 0xd0, v186
	v_add_co_u32 v91, null, 0x104, v186
	v_fma_f64 v[24:25], v[24:25], 2.0, -v[84:85]
	v_fma_f64 v[26:27], v[26:27], 2.0, -v[86:87]
	;; [unrolled: 1-line block ×22, first 2 shown]
	v_lshlrev_b32_e32 v94, 5, v186
	v_lshlrev_b32_e32 v95, 5, v143
	;; [unrolled: 1-line block ×5, first 2 shown]
	v_add_nc_u32_e32 v98, 0x340, v89
	v_lshlrev_b32_e32 v15, 4, v89
	v_add_co_u32 v97, null, 0x138, v186
	s_clause 0x1
	scratch_store_b32 off, v12, off offset:924
	scratch_store_b32 off, v96, off offset:4
	v_lshlrev_b32_e32 v12, 5, v90
	scratch_store_b32 off, v94, off offset:708 ; 4-byte Folded Spill
	v_add_co_u32 v92, null, 0x208, v186
	v_add_nc_u32_e32 v99, 0x3a8, v89
	v_lshlrev_b32_e32 v96, 1, v91
	ds_store_b128 v94, v[24:27]
	ds_store_b128 v94, v[84:87] offset:16
	ds_store_b128 v95, v[28:31]
	scratch_store_b32 off, v95, off offset:724 ; 4-byte Folded Spill
	ds_store_b128 v95, v[80:83] offset:16
	ds_store_b128 v14, v[36:39]
	scratch_store_b32 off, v14, off offset:748 ; 4-byte Folded Spill
	ds_store_b128 v14, v[76:79] offset:16
	ds_store_b128 v15, v[40:43] offset:4992
	;; [unrolled: 1-line block ×3, first 2 shown]
	v_add_nc_u32_e32 v95, 0x2d8, v89
	v_lshlrev_b32_e32 v14, 4, v98
	scratch_store_b32 off, v13, off offset:676 ; 4-byte Folded Spill
	v_lshlrev_b32_e32 v13, 5, v91
	ds_store_b128 v12, v[44:47]
	ds_store_b128 v12, v[68:71] offset:16
	s_clause 0x1
	scratch_store_b32 off, v12, off offset:660
	scratch_store_b32 off, v15, off offset:644
	ds_store_b128 v13, v[32:35]
	ds_store_b128 v13, v[64:67] offset:16
	v_lshlrev_b32_e32 v12, 5, v97
	scratch_store_b32 off, v13, off offset:692 ; 4-byte Folded Spill
	v_lshlrev_b32_e32 v13, 4, v95
	v_lshlrev_b32_e32 v94, 1, v90
	;; [unrolled: 1-line block ×3, first 2 shown]
	ds_store_b128 v12, v[20:23]
	ds_store_b128 v12, v[60:63] offset:16
	ds_store_b128 v15, v[16:19] offset:11648
	;; [unrolled: 1-line block ×3, first 2 shown]
	scratch_store_b32 off, v13, off offset:736 ; 4-byte Folded Spill
	v_lshlrev_b32_e32 v13, 4, v99
	scratch_store_b32 off, v12, off offset:728 ; 4-byte Folded Spill
	v_lshlrev_b32_e32 v12, 5, v92
	ds_store_b128 v15, v[48:51] offset:13312
	ds_store_b128 v14, v[52:55] offset:16
	scratch_store_b32 off, v14, off offset:740 ; 4-byte Folded Spill
	ds_store_b128 v15, v[8:11] offset:14976
	ds_store_b128 v13, v[100:103] offset:16
	s_clause 0x1
	scratch_store_b32 off, v12, off offset:1096
	scratch_store_b32 off, v13, off offset:732
	s_and_saveexec_b32 s0, vcc_lo
	s_cbranch_execz .LBB0_7
; %bb.6:
	v_lshlrev_b32_e32 v8, 5, v92
	ds_store_b128 v8, v[4:7]
	ds_store_b128 v8, v[0:3] offset:16
.LBB0_7:
	s_or_b32 exec_lo, exec_lo, s0
	s_waitcnt lgkmcnt(0)
	s_waitcnt_vscnt null, 0x0
	s_barrier
	buffer_gl0_inv
	ds_load_b128 v[24:27], v88
	ds_load_b128 v[28:31], v88 offset:832
	ds_load_b128 v[12:15], v88 offset:8736
	;; [unrolled: 1-line block ×19, first 2 shown]
	s_and_saveexec_b32 s0, vcc_lo
	s_cbranch_execz .LBB0_9
; %bb.8:
	ds_load_b128 v[4:7], v88 offset:8320
	ds_load_b128 v[0:3], v88 offset:17056
.LBB0_9:
	s_or_b32 exec_lo, exec_lo, s0
	v_and_b32_e32 v142, 1, v186
	scratch_store_b32 off, v143, off offset:556 ; 4-byte Folded Spill
	v_lshlrev_b32_e32 v90, 4, v142
	v_and_or_b32 v89, 0x7c, v89, v142
	scratch_store_b32 off, v142, off offset:1092 ; 4-byte Folded Spill
	global_load_b128 v[164:167], v90, s[2:3]
	s_waitcnt vmcnt(0) lgkmcnt(17)
	v_mul_f64 v[90:91], v[14:15], v[166:167]
	s_waitcnt lgkmcnt(9)
	v_mul_f64 v[114:115], v[70:71], v[166:167]
	v_mul_f64 v[100:101], v[12:13], v[166:167]
	;; [unrolled: 1-line block ×3, first 2 shown]
	s_waitcnt lgkmcnt(8)
	v_mul_f64 v[118:119], v[66:67], v[166:167]
	s_waitcnt lgkmcnt(0)
	v_mul_f64 v[134:135], v[82:83], v[166:167]
	v_mul_f64 v[104:105], v[8:9], v[166:167]
	;; [unrolled: 1-line block ×17, first 2 shown]
	v_fma_f64 v[12:13], v[12:13], v[164:165], -v[90:91]
	v_fma_f64 v[90:91], v[68:69], v[164:165], -v[114:115]
	v_fma_f64 v[14:15], v[14:15], v[164:165], v[100:101]
	v_fma_f64 v[8:9], v[8:9], v[164:165], -v[102:103]
	v_fma_f64 v[102:103], v[64:65], v[164:165], -v[118:119]
	;; [unrolled: 1-line block ×3, first 2 shown]
	v_fma_f64 v[10:11], v[10:11], v[164:165], v[104:105]
	v_fma_f64 v[20:21], v[20:21], v[164:165], -v[106:107]
	v_fma_f64 v[22:23], v[22:23], v[164:165], v[108:109]
	v_fma_f64 v[16:17], v[16:17], v[164:165], -v[110:111]
	v_fma_f64 v[18:19], v[18:19], v[164:165], v[112:113]
	v_fma_f64 v[100:101], v[70:71], v[164:165], v[116:117]
	;; [unrolled: 1-line block ×3, first 2 shown]
	v_fma_f64 v[106:107], v[76:77], v[164:165], -v[122:123]
	v_fma_f64 v[108:109], v[78:79], v[164:165], v[124:125]
	v_fma_f64 v[110:111], v[72:73], v[164:165], -v[126:127]
	v_fma_f64 v[112:113], v[74:75], v[164:165], v[128:129]
	;; [unrolled: 2-line block ×3, first 2 shown]
	v_fma_f64 v[120:121], v[82:83], v[164:165], v[136:137]
	v_fma_f64 v[122:123], v[0:1], v[164:165], -v[138:139]
	v_fma_f64 v[124:125], v[2:3], v[164:165], v[140:141]
	v_add_f64 v[64:65], v[24:25], -v[12:13]
	v_add_f64 v[80:81], v[40:41], -v[90:91]
	scratch_load_b32 v91, off, off offset:4 ; 4-byte Folded Reload
	v_add_f64 v[66:67], v[26:27], -v[14:15]
	v_add_f64 v[68:69], v[28:29], -v[8:9]
	;; [unrolled: 1-line block ×20, first 2 shown]
	v_lshlrev_b32_e32 v90, 1, v92
	v_and_or_b32 v92, 0x1fc, v93, v142
	v_and_or_b32 v93, 0x3fc, v94, v142
	;; [unrolled: 1-line block ×3, first 2 shown]
	scratch_store_b32 off, v90, off offset:628 ; 4-byte Folded Spill
	v_lshlrev_b32_e32 v90, 1, v143
	s_waitcnt vmcnt(0)
	s_waitcnt_vscnt null, 0x0
	s_barrier
	buffer_gl0_inv
	v_and_or_b32 v90, 0xfc, v90, v142
	v_fma_f64 v[100:101], v[24:25], 2.0, -v[64:65]
	v_fma_f64 v[40:41], v[40:41], 2.0, -v[80:81]
	;; [unrolled: 1-line block ×22, first 2 shown]
	v_and_or_b32 v4, 0x2fc, v97, v142
	v_and_or_b32 v5, 0x3fc, v95, v142
	v_and_or_b32 v6, 0x3fc, v98, v142
	v_and_or_b32 v7, 0x7fc, v99, v142
	v_lshlrev_b32_e32 v59, 4, v89
	v_lshlrev_b32_e32 v58, 4, v90
	;; [unrolled: 1-line block ×9, first 2 shown]
	scratch_store_b32 off, v59, off offset:792 ; 4-byte Folded Spill
	ds_store_b128 v59, v[100:103]
	ds_store_b128 v59, v[64:67] offset:32
	ds_store_b128 v58, v[104:107]
	scratch_store_b32 off, v58, off offset:788 ; 4-byte Folded Spill
	v_lshlrev_b32_e32 v91, 1, v91
	s_delay_alu instid0(VALU_DEP_1) | instskip(NEXT) | instid1(VALU_DEP_1)
	v_and_or_b32 v91, 0x1fc, v91, v142
	v_lshlrev_b32_e32 v57, 4, v91
	ds_store_b128 v58, v[68:71] offset:32
	ds_store_b128 v57, v[32:35]
	scratch_store_b32 off, v57, off offset:776 ; 4-byte Folded Spill
	ds_store_b128 v57, v[72:75] offset:32
	ds_store_b128 v56, v[36:39]
	scratch_store_b32 off, v56, off offset:772 ; 4-byte Folded Spill
	;; [unrolled: 3-line block ×8, first 2 shown]
	ds_store_b128 v4, v[12:15] offset:32
	s_and_saveexec_b32 s0, vcc_lo
	s_cbranch_execz .LBB0_11
; %bb.10:
	scratch_load_b32 v5, off, off offset:628 ; 4-byte Folded Reload
	v_and_b32_e32 v4, 1, v186
	s_waitcnt vmcnt(0)
	s_delay_alu instid0(VALU_DEP_1) | instskip(NEXT) | instid1(VALU_DEP_1)
	v_and_or_b32 v4, 0x47c, v5, v4
	v_lshlrev_b32_e32 v4, 4, v4
	ds_store_b128 v4, v[128:131]
	ds_store_b128 v4, v[16:19] offset:32
.LBB0_11:
	s_or_b32 exec_lo, exec_lo, s0
	s_waitcnt lgkmcnt(0)
	s_waitcnt_vscnt null, 0x0
	s_barrier
	buffer_gl0_inv
	ds_load_b128 v[4:7], v88
	ds_load_b128 v[48:51], v88 offset:1344
	ds_load_b128 v[40:43], v88 offset:2688
	;; [unrolled: 1-line block ×12, first 2 shown]
	v_cmp_gt_u16_e64 s0, 32, v186
                                        ; implicit-def: $vgpr152_vgpr153
                                        ; implicit-def: $vgpr132_vgpr133
                                        ; implicit-def: $vgpr140_vgpr141
                                        ; implicit-def: $vgpr144_vgpr145
	s_delay_alu instid0(VALU_DEP_1)
	s_and_saveexec_b32 s1, s0
	s_cbranch_execz .LBB0_13
; %bb.12:
	ds_load_b128 v[0:3], v88 offset:832
	ds_load_b128 v[136:139], v88 offset:2176
	ds_load_b128 v[20:23], v88 offset:3520
	ds_load_b128 v[24:27], v88 offset:4864
	ds_load_b128 v[8:11], v88 offset:6208
	ds_load_b128 v[28:31], v88 offset:7552
	ds_load_b128 v[12:15], v88 offset:8896
	ds_load_b128 v[128:131], v88 offset:10240
	ds_load_b128 v[16:19], v88 offset:11584
	ds_load_b128 v[152:155], v88 offset:12928
	ds_load_b128 v[132:135], v88 offset:14272
	ds_load_b128 v[140:143], v88 offset:15616
	ds_load_b128 v[144:147], v88 offset:16960
.LBB0_13:
	s_or_b32 exec_lo, exec_lo, s1
	v_and_b32_e32 v101, 3, v186
	s_mov_b32 s30, 0x4267c47c
	s_mov_b32 s28, 0x42a4c3d2
	;; [unrolled: 1-line block ×4, first 2 shown]
	v_mul_u32_u24_e32 v52, 12, v101
	s_mov_b32 s24, 0x24c2f84
	s_mov_b32 s34, 0x4bc48dbf
	;; [unrolled: 1-line block ×4, first 2 shown]
	v_lshlrev_b32_e32 v54, 4, v52
	s_mov_b32 s27, 0xbfefc445
	s_mov_b32 s23, 0xbfedeba7
	s_mov_b32 s25, 0xbfe5384d
	s_mov_b32 s35, 0xbfcea1e5
	s_clause 0x1
	global_load_b128 v[106:109], v54, s[2:3] offset:32
	global_load_b128 v[59:62], v54, s[2:3] offset:48
	s_mov_b32 s20, 0xe00740e9
	s_mov_b32 s18, 0x1ea71119
	;; [unrolled: 1-line block ×24, first 2 shown]
	s_waitcnt vmcnt(1) lgkmcnt(11)
	v_mul_f64 v[52:53], v[48:49], v[108:109]
	s_waitcnt vmcnt(0)
	v_dual_mov_b32 v70, v62 :: v_dual_mov_b32 v69, v61
	s_clause 0x1
	global_load_b128 v[55:58], v54, s[2:3] offset:208
	global_load_b128 v[102:105], v54, s[2:3] offset:192
	v_dual_mov_b32 v68, v60 :: v_dual_mov_b32 v67, v59
	v_fma_f64 v[52:53], v[50:51], v[106:107], v[52:53]
	v_mul_f64 v[50:51], v[50:51], v[108:109]
	s_delay_alu instid0(VALU_DEP_1) | instskip(SKIP_2) | instid1(VALU_DEP_1)
	v_fma_f64 v[48:49], v[48:49], v[106:107], -v[50:51]
	s_waitcnt vmcnt(1) lgkmcnt(0)
	v_mul_f64 v[50:51], v[44:45], v[57:58]
	v_fma_f64 v[50:51], v[46:47], v[55:56], v[50:51]
	v_mul_f64 v[46:47], v[46:47], v[57:58]
	s_delay_alu instid0(VALU_DEP_1) | instskip(SKIP_1) | instid1(VALU_DEP_1)
	v_fma_f64 v[170:171], v[44:45], v[55:56], -v[46:47]
	v_mul_f64 v[44:45], v[42:43], v[61:62]
	v_fma_f64 v[174:175], v[40:41], v[59:60], -v[44:45]
	v_mul_f64 v[40:41], v[40:41], v[61:62]
	s_delay_alu instid0(VALU_DEP_1) | instskip(SKIP_2) | instid1(VALU_DEP_1)
	v_fma_f64 v[176:177], v[42:43], v[59:60], v[40:41]
	s_waitcnt vmcnt(0)
	v_mul_f64 v[40:41], v[36:37], v[104:105]
	v_fma_f64 v[172:173], v[38:39], v[102:103], v[40:41]
	v_mul_f64 v[38:39], v[38:39], v[104:105]
	s_delay_alu instid0(VALU_DEP_1)
	v_fma_f64 v[178:179], v[36:37], v[102:103], -v[38:39]
	s_clause 0x1
	global_load_b128 v[38:41], v54, s[2:3] offset:64
	global_load_b128 v[42:45], v54, s[2:3] offset:80
	s_waitcnt vmcnt(1)
	v_mul_f64 v[36:37], v[34:35], v[40:41]
	s_delay_alu instid0(VALU_DEP_1) | instskip(SKIP_1) | instid1(VALU_DEP_1)
	v_fma_f64 v[180:181], v[32:33], v[38:39], -v[36:37]
	v_mul_f64 v[32:33], v[32:33], v[40:41]
	v_fma_f64 v[182:183], v[34:35], v[38:39], v[32:33]
	s_clause 0x1
	global_load_b128 v[34:37], v54, s[2:3] offset:176
	global_load_b128 v[63:66], v54, s[2:3] offset:160
	s_waitcnt vmcnt(1)
	v_mul_f64 v[32:33], v[162:163], v[36:37]
	s_delay_alu instid0(VALU_DEP_1) | instskip(SKIP_1) | instid1(VALU_DEP_1)
	v_fma_f64 v[184:185], v[160:161], v[34:35], -v[32:33]
	v_mul_f64 v[32:33], v[160:161], v[36:37]
	v_fma_f64 v[168:169], v[162:163], v[34:35], v[32:33]
	v_mul_f64 v[32:33], v[118:119], v[44:45]
	s_delay_alu instid0(VALU_DEP_1) | instskip(SKIP_1) | instid1(VALU_DEP_1)
	v_fma_f64 v[162:163], v[116:117], v[42:43], -v[32:33]
	v_mul_f64 v[32:33], v[116:117], v[44:45]
	v_fma_f64 v[190:191], v[118:119], v[42:43], v[32:33]
	s_waitcnt vmcnt(0)
	v_mul_f64 v[32:33], v[112:113], v[65:66]
	s_delay_alu instid0(VALU_DEP_1) | instskip(SKIP_1) | instid1(VALU_DEP_1)
	v_fma_f64 v[94:95], v[114:115], v[63:64], v[32:33]
	v_mul_f64 v[32:33], v[114:115], v[65:66]
	v_fma_f64 v[192:193], v[112:113], v[63:64], -v[32:33]
	v_dual_mov_b32 v113, v58 :: v_dual_mov_b32 v112, v57
	v_dual_mov_b32 v111, v56 :: v_dual_mov_b32 v110, v55
	s_clause 0x1
	global_load_b128 v[55:58], v54, s[2:3] offset:96
	global_load_b128 v[59:62], v54, s[2:3] offset:112
	scratch_store_b32 off, v186, off        ; 4-byte Folded Spill
	v_add_f64 v[72:73], v[162:163], -v[192:193]
	s_waitcnt vmcnt(1)
	v_mul_f64 v[32:33], v[126:127], v[57:58]
	s_delay_alu instid0(VALU_DEP_1) | instskip(SKIP_1) | instid1(VALU_DEP_1)
	v_fma_f64 v[194:195], v[124:125], v[55:56], -v[32:33]
	v_mul_f64 v[32:33], v[124:125], v[57:58]
	v_fma_f64 v[196:197], v[126:127], v[55:56], v[32:33]
	s_waitcnt vmcnt(0)
	v_mul_f64 v[32:33], v[122:123], v[61:62]
	s_delay_alu instid0(VALU_DEP_1) | instskip(SKIP_3) | instid1(VALU_DEP_3)
	v_fma_f64 v[198:199], v[120:121], v[59:60], -v[32:33]
	v_mul_f64 v[32:33], v[120:121], v[61:62]
	v_dual_mov_b32 v121, v41 :: v_dual_mov_b32 v120, v40
	v_dual_mov_b32 v119, v39 :: v_dual_mov_b32 v118, v38
	v_fma_f64 v[200:201], v[122:123], v[59:60], v[32:33]
	v_dual_mov_b32 v125, v37 :: v_dual_mov_b32 v124, v36
	v_dual_mov_b32 v123, v35 :: v_dual_mov_b32 v122, v34
	s_clause 0x1
	global_load_b128 v[38:41], v54, s[2:3] offset:128
	global_load_b128 v[34:37], v54, s[2:3] offset:144
	s_clause 0x5
	scratch_store_b128 off, v[67:70], off offset:180
	scratch_store_b128 off, v[42:45], off offset:20
	;; [unrolled: 1-line block ×5, first 2 shown]
	scratch_store_b64 off, v[50:51], off offset:532
	s_waitcnt vmcnt(1)
	v_mul_f64 v[32:33], v[158:159], v[40:41]
	scratch_store_b128 off, v[38:41], off offset:84 ; 16-byte Folded Spill
	s_waitcnt vmcnt(0)
	scratch_store_b128 off, v[34:37], off offset:68 ; 16-byte Folded Spill
	v_fma_f64 v[202:203], v[156:157], v[38:39], -v[32:33]
	v_mul_f64 v[32:33], v[156:157], v[40:41]
	s_delay_alu instid0(VALU_DEP_1) | instskip(SKIP_1) | instid1(VALU_DEP_1)
	v_fma_f64 v[204:205], v[158:159], v[38:39], v[32:33]
	v_mul_f64 v[32:33], v[150:151], v[36:37]
	v_fma_f64 v[206:207], v[148:149], v[34:35], -v[32:33]
	v_mul_f64 v[32:33], v[148:149], v[36:37]
	s_delay_alu instid0(VALU_DEP_1) | instskip(SKIP_1) | instid1(VALU_DEP_2)
	v_fma_f64 v[208:209], v[150:151], v[34:35], v[32:33]
	v_mul_f64 v[32:33], v[138:139], v[108:109]
	v_add_f64 v[76:77], v[196:197], -v[208:209]
	s_delay_alu instid0(VALU_DEP_2) | instskip(SKIP_1) | instid1(VALU_DEP_1)
	v_fma_f64 v[232:233], v[136:137], v[106:107], -v[32:33]
	v_mul_f64 v[32:33], v[136:137], v[108:109]
	v_fma_f64 v[238:239], v[138:139], v[106:107], v[32:33]
	v_mul_f64 v[32:33], v[22:23], v[69:70]
	s_delay_alu instid0(VALU_DEP_2) | instskip(NEXT) | instid1(VALU_DEP_2)
	v_dual_mov_b32 v126, v238 :: v_dual_mov_b32 v127, v239
	v_fma_f64 v[236:237], v[20:21], v[67:68], -v[32:33]
	v_mul_f64 v[20:21], v[20:21], v[69:70]
	s_delay_alu instid0(VALU_DEP_1) | instskip(SKIP_2) | instid1(VALU_DEP_2)
	v_fma_f64 v[96:97], v[22:23], v[67:68], v[20:21]
	v_mul_f64 v[20:21], v[26:27], v[120:121]
	v_add_f64 v[68:69], v[190:191], -v[94:95]
	v_fma_f64 v[114:115], v[24:25], v[118:119], -v[20:21]
	v_mul_f64 v[20:21], v[24:25], v[120:121]
	s_delay_alu instid0(VALU_DEP_1) | instskip(SKIP_1) | instid1(VALU_DEP_1)
	v_fma_f64 v[212:213], v[26:27], v[118:119], v[20:21]
	v_mul_f64 v[20:21], v[10:11], v[44:45]
	v_fma_f64 v[150:151], v[8:9], v[42:43], -v[20:21]
	v_mul_f64 v[8:9], v[8:9], v[44:45]
	v_add_f64 v[20:21], v[48:49], v[170:171]
	v_add_f64 v[44:45], v[52:53], v[50:51]
	s_delay_alu instid0(VALU_DEP_3) | instskip(SKIP_1) | instid1(VALU_DEP_1)
	v_fma_f64 v[214:215], v[10:11], v[42:43], v[8:9]
	v_mul_f64 v[8:9], v[30:31], v[57:58]
	v_fma_f64 v[156:157], v[28:29], v[55:56], -v[8:9]
	v_mul_f64 v[8:9], v[28:29], v[57:58]
	s_delay_alu instid0(VALU_DEP_1) | instskip(SKIP_1) | instid1(VALU_DEP_1)
	v_fma_f64 v[218:219], v[30:31], v[55:56], v[8:9]
	v_mul_f64 v[8:9], v[14:15], v[61:62]
	v_fma_f64 v[158:159], v[12:13], v[59:60], -v[8:9]
	v_mul_f64 v[8:9], v[12:13], v[61:62]
	s_delay_alu instid0(VALU_DEP_1) | instskip(SKIP_1) | instid1(VALU_DEP_1)
	v_fma_f64 v[222:223], v[14:15], v[59:60], v[8:9]
	v_mul_f64 v[8:9], v[130:131], v[40:41]
	v_fma_f64 v[210:211], v[128:129], v[38:39], -v[8:9]
	v_mul_f64 v[8:9], v[128:129], v[40:41]
	s_delay_alu instid0(VALU_DEP_1) | instskip(SKIP_2) | instid1(VALU_DEP_2)
	v_fma_f64 v[226:227], v[130:131], v[38:39], v[8:9]
	v_mul_f64 v[8:9], v[18:19], v[36:37]
	v_add_f64 v[130:131], v[194:195], -v[206:207]
	v_fma_f64 v[160:161], v[16:17], v[34:35], -v[8:9]
	v_mul_f64 v[8:9], v[16:17], v[36:37]
	s_delay_alu instid0(VALU_DEP_2) | instskip(NEXT) | instid1(VALU_DEP_2)
	v_add_f64 v[242:243], v[156:157], -v[160:161]
	v_fma_f64 v[220:221], v[18:19], v[34:35], v[8:9]
	v_mul_f64 v[8:9], v[154:155], v[65:66]
	s_delay_alu instid0(VALU_DEP_2) | instskip(NEXT) | instid1(VALU_DEP_2)
	v_add_f64 v[246:247], v[218:219], -v[220:221]
	v_fma_f64 v[116:117], v[152:153], v[63:64], -v[8:9]
	v_mul_f64 v[8:9], v[152:153], v[65:66]
	v_add_f64 v[66:67], v[196:197], v[208:209]
	s_delay_alu instid0(VALU_DEP_3) | instskip(NEXT) | instid1(VALU_DEP_3)
	v_add_f64 v[240:241], v[150:151], -v[116:117]
	v_fma_f64 v[152:153], v[154:155], v[63:64], v[8:9]
	v_mul_f64 v[8:9], v[134:135], v[124:125]
	v_add_f64 v[62:63], v[182:183], -v[168:169]
	v_add_f64 v[64:65], v[180:181], -v[184:185]
	s_delay_alu instid0(VALU_DEP_4) | instskip(NEXT) | instid1(VALU_DEP_4)
	v_add_f64 v[244:245], v[214:215], -v[152:153]
	v_fma_f64 v[98:99], v[132:133], v[122:123], -v[8:9]
	v_mul_f64 v[8:9], v[132:133], v[124:125]
	v_add_f64 v[132:133], v[200:201], -v[204:205]
	s_delay_alu instid0(VALU_DEP_2) | instskip(SKIP_2) | instid1(VALU_DEP_2)
	v_fma_f64 v[230:231], v[134:135], v[122:123], v[8:9]
	v_mul_f64 v[8:9], v[142:143], v[104:105]
	v_add_f64 v[134:135], v[198:199], -v[202:203]
	v_fma_f64 v[216:217], v[140:141], v[102:103], -v[8:9]
	v_mul_f64 v[8:9], v[140:141], v[104:105]
	s_delay_alu instid0(VALU_DEP_1) | instskip(SKIP_1) | instid1(VALU_DEP_2)
	v_fma_f64 v[228:229], v[142:143], v[102:103], v[8:9]
	v_mul_f64 v[8:9], v[146:147], v[112:113]
	v_add_f64 v[234:235], v[96:97], -v[228:229]
	s_delay_alu instid0(VALU_DEP_2) | instskip(SKIP_2) | instid1(VALU_DEP_4)
	v_fma_f64 v[154:155], v[144:145], v[110:111], -v[8:9]
	v_mul_f64 v[8:9], v[144:145], v[112:113]
	v_mul_f64 v[144:145], v[132:133], s[34:35]
	;; [unrolled: 1-line block ×3, first 2 shown]
	s_delay_alu instid0(VALU_DEP_4) | instskip(NEXT) | instid1(VALU_DEP_4)
	v_add_f64 v[252:253], v[232:233], v[154:155]
	v_fma_f64 v[224:225], v[146:147], v[110:111], v[8:9]
	v_add_f64 v[8:9], v[52:53], -v[50:51]
	v_mul_f64 v[146:147], v[134:135], s[34:35]
	v_mul_f64 v[250:251], v[234:235], s[34:35]
	s_delay_alu instid0(VALU_DEP_3)
	v_mul_f64 v[10:11], v[8:9], s[30:31]
	v_mul_f64 v[12:13], v[8:9], s[28:29]
	;; [unrolled: 1-line block ×6, first 2 shown]
	v_fma_f64 v[22:23], v[20:21], s[20:21], -v[10:11]
	v_fma_f64 v[10:11], v[20:21], s[20:21], v[10:11]
	v_fma_f64 v[24:25], v[20:21], s[18:19], -v[12:13]
	v_fma_f64 v[12:13], v[20:21], s[18:19], v[12:13]
	;; [unrolled: 2-line block ×6, first 2 shown]
	v_add_f64 v[20:21], v[48:49], -v[170:171]
	v_add_f64 v[22:23], v[4:5], v[22:23]
	v_add_f64 v[10:11], v[4:5], v[10:11]
	;; [unrolled: 1-line block ×10, first 2 shown]
	v_mul_f64 v[16:17], v[62:63], s[26:27]
	v_mul_f64 v[34:35], v[20:21], s[30:31]
	v_mul_f64 v[36:37], v[20:21], s[28:29]
	v_mul_f64 v[38:39], v[20:21], s[26:27]
	v_mul_f64 v[40:41], v[20:21], s[22:23]
	v_mul_f64 v[42:43], v[20:21], s[24:25]
	v_mul_f64 v[20:21], v[20:21], s[34:35]
	v_fma_f64 v[46:47], v[44:45], s[20:21], v[34:35]
	v_fma_f64 v[34:35], v[44:45], s[20:21], -v[34:35]
	v_fma_f64 v[50:51], v[44:45], s[18:19], v[36:37]
	v_fma_f64 v[36:37], v[44:45], s[18:19], -v[36:37]
	;; [unrolled: 2-line block ×6, first 2 shown]
	v_add_f64 v[44:45], v[4:5], v[48:49]
	v_add_f64 v[48:49], v[162:163], v[192:193]
	;; [unrolled: 1-line block ×11, first 2 shown]
	v_add_f64 v[58:59], v[176:177], -v[172:173]
	v_add_f64 v[42:43], v[176:177], v[172:173]
	scratch_store_b64 off, v[44:45], off offset:560 ; 8-byte Folded Spill
	v_add_f64 v[44:45], v[6:7], v[52:53]
	v_add_f64 v[52:53], v[6:7], v[60:61]
	v_add_f64 v[60:61], v[174:175], -v[178:179]
	v_add_f64 v[36:37], v[4:5], v[8:9]
	v_add_f64 v[38:39], v[6:7], v[20:21]
	;; [unrolled: 1-line block ×6, first 2 shown]
	v_mul_f64 v[8:9], v[58:59], s[28:29]
	scratch_store_b64 off, v[44:45], off offset:576 ; 8-byte Folded Spill
	v_add_f64 v[44:45], v[6:7], v[46:47]
	v_mul_f64 v[14:15], v[60:61], s[28:29]
	v_add_f64 v[46:47], v[182:183], v[168:169]
	v_fma_f64 v[4:5], v[40:41], s[18:19], -v[8:9]
	v_fma_f64 v[8:9], v[40:41], s[18:19], v[8:9]
	s_delay_alu instid0(VALU_DEP_4) | instskip(NEXT) | instid1(VALU_DEP_3)
	v_fma_f64 v[6:7], v[42:43], s[18:19], v[14:15]
	v_add_f64 v[4:5], v[4:5], v[22:23]
	s_delay_alu instid0(VALU_DEP_3) | instskip(SKIP_1) | instid1(VALU_DEP_4)
	v_add_f64 v[8:9], v[8:9], v[10:11]
	v_fma_f64 v[10:11], v[42:43], s[18:19], -v[14:15]
	v_add_f64 v[6:7], v[6:7], v[44:45]
	v_add_f64 v[44:45], v[180:181], v[184:185]
	s_delay_alu instid0(VALU_DEP_3) | instskip(NEXT) | instid1(VALU_DEP_2)
	v_add_f64 v[10:11], v[10:11], v[34:35]
	v_fma_f64 v[18:19], v[44:45], s[16:17], -v[16:17]
	v_fma_f64 v[14:15], v[44:45], s[16:17], v[16:17]
	s_delay_alu instid0(VALU_DEP_2) | instskip(SKIP_1) | instid1(VALU_DEP_3)
	v_add_f64 v[4:5], v[18:19], v[4:5]
	v_mul_f64 v[18:19], v[64:65], s[26:27]
	v_add_f64 v[8:9], v[14:15], v[8:9]
	s_delay_alu instid0(VALU_DEP_2) | instskip(SKIP_1) | instid1(VALU_DEP_2)
	v_fma_f64 v[20:21], v[46:47], s[16:17], v[18:19]
	v_fma_f64 v[14:15], v[46:47], s[16:17], -v[18:19]
	v_add_f64 v[6:7], v[20:21], v[6:7]
	v_mul_f64 v[20:21], v[68:69], s[22:23]
	s_delay_alu instid0(VALU_DEP_3) | instskip(NEXT) | instid1(VALU_DEP_2)
	v_add_f64 v[10:11], v[14:15], v[10:11]
	v_fma_f64 v[22:23], v[48:49], s[14:15], -v[20:21]
	v_fma_f64 v[14:15], v[48:49], s[14:15], v[20:21]
	v_mul_f64 v[20:21], v[60:61], s[22:23]
	s_delay_alu instid0(VALU_DEP_3) | instskip(SKIP_1) | instid1(VALU_DEP_4)
	v_add_f64 v[4:5], v[22:23], v[4:5]
	v_mul_f64 v[22:23], v[72:73], s[22:23]
	v_add_f64 v[8:9], v[14:15], v[8:9]
	s_delay_alu instid0(VALU_DEP_4) | instskip(NEXT) | instid1(VALU_DEP_3)
	v_fma_f64 v[18:19], v[42:43], s[14:15], v[20:21]
	v_fma_f64 v[30:31], v[50:51], s[14:15], v[22:23]
	v_fma_f64 v[14:15], v[50:51], s[14:15], -v[22:23]
	v_mul_f64 v[22:23], v[62:63], s[34:35]
	s_delay_alu instid0(VALU_DEP_4) | instskip(NEXT) | instid1(VALU_DEP_4)
	v_add_f64 v[18:19], v[18:19], v[80:81]
	v_add_f64 v[6:7], v[30:31], v[6:7]
	v_mul_f64 v[30:31], v[76:77], s[24:25]
	v_add_f64 v[10:11], v[14:15], v[10:11]
	s_delay_alu instid0(VALU_DEP_2) | instskip(SKIP_1) | instid1(VALU_DEP_2)
	v_fma_f64 v[32:33], v[54:55], s[12:13], -v[30:31]
	v_fma_f64 v[14:15], v[54:55], s[12:13], v[30:31]
	v_add_f64 v[4:5], v[32:33], v[4:5]
	v_mul_f64 v[32:33], v[130:131], s[24:25]
	s_delay_alu instid0(VALU_DEP_3) | instskip(NEXT) | instid1(VALU_DEP_2)
	v_add_f64 v[8:9], v[14:15], v[8:9]
	v_fma_f64 v[70:71], v[66:67], s[12:13], v[32:33]
	v_fma_f64 v[14:15], v[66:67], s[12:13], -v[32:33]
	s_delay_alu instid0(VALU_DEP_2) | instskip(SKIP_1) | instid1(VALU_DEP_3)
	v_add_f64 v[6:7], v[70:71], v[6:7]
	v_add_f64 v[70:71], v[198:199], v[202:203]
	;; [unrolled: 1-line block ×3, first 2 shown]
	s_delay_alu instid0(VALU_DEP_2) | instskip(SKIP_1) | instid1(VALU_DEP_2)
	v_fma_f64 v[128:129], v[70:71], s[10:11], -v[144:145]
	v_fma_f64 v[14:15], v[70:71], s[10:11], v[144:145]
	v_add_f64 v[4:5], v[128:129], v[4:5]
	v_add_f64 v[128:129], v[200:201], v[204:205]
	s_delay_alu instid0(VALU_DEP_3) | instskip(SKIP_1) | instid1(VALU_DEP_3)
	v_add_f64 v[8:9], v[14:15], v[8:9]
	v_mul_f64 v[14:15], v[58:59], s[22:23]
	v_fma_f64 v[16:17], v[128:129], s[10:11], -v[146:147]
	v_fma_f64 v[148:149], v[128:129], s[10:11], v[146:147]
	s_delay_alu instid0(VALU_DEP_2) | instskip(NEXT) | instid1(VALU_DEP_4)
	v_add_f64 v[10:11], v[16:17], v[10:11]
	v_fma_f64 v[16:17], v[40:41], s[14:15], -v[14:15]
	v_fma_f64 v[14:15], v[40:41], s[14:15], v[14:15]
	s_delay_alu instid0(VALU_DEP_4) | instskip(NEXT) | instid1(VALU_DEP_3)
	v_add_f64 v[6:7], v[148:149], v[6:7]
	v_add_f64 v[16:17], v[16:17], v[24:25]
	v_fma_f64 v[24:25], v[44:45], s[10:11], -v[22:23]
	s_delay_alu instid0(VALU_DEP_4) | instskip(SKIP_2) | instid1(VALU_DEP_4)
	v_add_f64 v[12:13], v[14:15], v[12:13]
	v_fma_f64 v[14:15], v[42:43], s[14:15], -v[20:21]
	v_fma_f64 v[20:21], v[44:45], s[10:11], v[22:23]
	v_add_f64 v[16:17], v[24:25], v[16:17]
	v_mul_f64 v[24:25], v[64:65], s[34:35]
	s_delay_alu instid0(VALU_DEP_4) | instskip(NEXT) | instid1(VALU_DEP_4)
	v_add_f64 v[14:15], v[14:15], v[82:83]
	v_add_f64 v[12:13], v[20:21], v[12:13]
	v_mul_f64 v[82:83], v[72:73], s[38:39]
	s_delay_alu instid0(VALU_DEP_4) | instskip(SKIP_1) | instid1(VALU_DEP_2)
	v_fma_f64 v[30:31], v[46:47], s[10:11], v[24:25]
	v_fma_f64 v[20:21], v[46:47], s[10:11], -v[24:25]
	v_add_f64 v[18:19], v[30:31], v[18:19]
	v_mul_f64 v[30:31], v[68:69], s[40:41]
	s_delay_alu instid0(VALU_DEP_3) | instskip(NEXT) | instid1(VALU_DEP_2)
	v_add_f64 v[14:15], v[20:21], v[14:15]
	v_fma_f64 v[32:33], v[48:49], s[12:13], -v[30:31]
	v_fma_f64 v[20:21], v[48:49], s[12:13], v[30:31]
	v_mul_f64 v[30:31], v[60:61], s[34:35]
	s_delay_alu instid0(VALU_DEP_3) | instskip(SKIP_1) | instid1(VALU_DEP_4)
	v_add_f64 v[16:17], v[32:33], v[16:17]
	v_mul_f64 v[32:33], v[72:73], s[40:41]
	v_add_f64 v[12:13], v[20:21], v[12:13]
	s_delay_alu instid0(VALU_DEP_4) | instskip(SKIP_1) | instid1(VALU_DEP_4)
	v_fma_f64 v[24:25], v[42:43], s[10:11], v[30:31]
	v_fma_f64 v[30:31], v[42:43], s[10:11], -v[30:31]
	v_fma_f64 v[34:35], v[50:51], s[12:13], v[32:33]
	v_fma_f64 v[20:21], v[50:51], s[12:13], -v[32:33]
	v_mul_f64 v[32:33], v[62:63], s[42:43]
	v_add_f64 v[24:25], v[24:25], v[84:85]
	v_mul_f64 v[84:85], v[76:77], s[28:29]
	v_add_f64 v[30:31], v[30:31], v[89:90]
	;; [unrolled: 2-line block ×4, first 2 shown]
	s_delay_alu instid0(VALU_DEP_2) | instskip(SKIP_2) | instid1(VALU_DEP_3)
	v_fma_f64 v[80:81], v[54:55], s[16:17], -v[34:35]
	v_fma_f64 v[20:21], v[54:55], s[16:17], v[34:35]
	v_mul_f64 v[34:35], v[64:65], s[42:43]
	v_add_f64 v[16:17], v[80:81], v[16:17]
	v_mul_f64 v[80:81], v[130:131], s[36:37]
	s_delay_alu instid0(VALU_DEP_4) | instskip(NEXT) | instid1(VALU_DEP_2)
	v_add_f64 v[12:13], v[20:21], v[12:13]
	v_fma_f64 v[144:145], v[66:67], s[16:17], v[80:81]
	v_fma_f64 v[20:21], v[66:67], s[16:17], -v[80:81]
	v_mul_f64 v[80:81], v[68:69], s[38:39]
	s_delay_alu instid0(VALU_DEP_3) | instskip(SKIP_1) | instid1(VALU_DEP_4)
	v_add_f64 v[18:19], v[144:145], v[18:19]
	v_mul_f64 v[144:145], v[132:133], s[38:39]
	v_add_f64 v[14:15], v[20:21], v[14:15]
	s_delay_alu instid0(VALU_DEP_2) | instskip(SKIP_2) | instid1(VALU_DEP_3)
	v_fma_f64 v[146:147], v[70:71], s[20:21], -v[144:145]
	v_fma_f64 v[20:21], v[70:71], s[20:21], v[144:145]
	v_mul_f64 v[144:145], v[130:131], s[28:29]
	v_add_f64 v[16:17], v[146:147], v[16:17]
	v_mul_f64 v[146:147], v[134:135], s[38:39]
	s_delay_alu instid0(VALU_DEP_4) | instskip(SKIP_1) | instid1(VALU_DEP_3)
	v_add_f64 v[12:13], v[20:21], v[12:13]
	v_mul_f64 v[20:21], v[58:59], s[34:35]
	v_fma_f64 v[22:23], v[128:129], s[20:21], -v[146:147]
	v_fma_f64 v[148:149], v[128:129], s[20:21], v[146:147]
	v_mul_f64 v[146:147], v[132:133], s[24:25]
	s_delay_alu instid0(VALU_DEP_3) | instskip(SKIP_3) | instid1(VALU_DEP_3)
	v_add_f64 v[14:15], v[22:23], v[14:15]
	v_fma_f64 v[22:23], v[40:41], s[10:11], -v[20:21]
	v_fma_f64 v[20:21], v[40:41], s[10:11], v[20:21]
	v_add_f64 v[18:19], v[148:149], v[18:19]
	v_add_f64 v[22:23], v[22:23], v[26:27]
	v_fma_f64 v[26:27], v[44:45], s[14:15], -v[32:33]
	s_delay_alu instid0(VALU_DEP_4) | instskip(SKIP_2) | instid1(VALU_DEP_4)
	v_add_f64 v[20:21], v[20:21], v[86:87]
	v_fma_f64 v[32:33], v[44:45], s[14:15], v[32:33]
	v_mul_f64 v[86:87], v[68:69], s[26:27]
	v_add_f64 v[22:23], v[26:27], v[22:23]
	v_fma_f64 v[26:27], v[46:47], s[14:15], v[34:35]
	s_delay_alu instid0(VALU_DEP_4) | instskip(SKIP_1) | instid1(VALU_DEP_3)
	v_add_f64 v[20:21], v[32:33], v[20:21]
	v_fma_f64 v[32:33], v[46:47], s[14:15], -v[34:35]
	v_add_f64 v[24:25], v[26:27], v[24:25]
	v_fma_f64 v[26:27], v[48:49], s[20:21], -v[80:81]
	s_delay_alu instid0(VALU_DEP_3) | instskip(SKIP_2) | instid1(VALU_DEP_4)
	v_add_f64 v[30:31], v[32:33], v[30:31]
	v_fma_f64 v[32:33], v[48:49], s[20:21], v[80:81]
	v_mul_f64 v[80:81], v[60:61], s[40:41]
	v_add_f64 v[22:23], v[26:27], v[22:23]
	v_fma_f64 v[26:27], v[50:51], s[20:21], v[82:83]
	s_delay_alu instid0(VALU_DEP_4) | instskip(SKIP_2) | instid1(VALU_DEP_4)
	v_add_f64 v[20:21], v[32:33], v[20:21]
	v_fma_f64 v[32:33], v[50:51], s[20:21], -v[82:83]
	v_mul_f64 v[82:83], v[62:63], s[38:39]
	v_add_f64 v[24:25], v[26:27], v[24:25]
	v_fma_f64 v[26:27], v[54:55], s[18:19], -v[84:85]
	s_delay_alu instid0(VALU_DEP_4)
	v_add_f64 v[30:31], v[32:33], v[30:31]
	v_fma_f64 v[32:33], v[54:55], s[18:19], v[84:85]
	v_fma_f64 v[34:35], v[44:45], s[20:21], -v[82:83]
	v_mul_f64 v[84:85], v[64:65], s[38:39]
	v_fma_f64 v[82:83], v[44:45], s[20:21], v[82:83]
	v_add_f64 v[22:23], v[26:27], v[22:23]
	v_fma_f64 v[26:27], v[66:67], s[18:19], v[144:145]
	v_add_f64 v[20:21], v[32:33], v[20:21]
	v_fma_f64 v[32:33], v[66:67], s[18:19], -v[144:145]
	v_mul_f64 v[144:145], v[130:131], s[46:47]
	s_delay_alu instid0(VALU_DEP_4) | instskip(SKIP_1) | instid1(VALU_DEP_4)
	v_add_f64 v[26:27], v[26:27], v[24:25]
	v_fma_f64 v[24:25], v[70:71], s[12:13], -v[146:147]
	v_add_f64 v[30:31], v[32:33], v[30:31]
	v_fma_f64 v[32:33], v[70:71], s[12:13], v[146:147]
	v_mul_f64 v[146:147], v[132:133], s[44:45]
	s_delay_alu instid0(VALU_DEP_4) | instskip(SKIP_1) | instid1(VALU_DEP_4)
	v_add_f64 v[24:25], v[24:25], v[22:23]
	v_mul_f64 v[22:23], v[134:135], s[24:25]
	v_add_f64 v[20:21], v[32:33], v[20:21]
	s_delay_alu instid0(VALU_DEP_2) | instskip(SKIP_1) | instid1(VALU_DEP_2)
	v_fma_f64 v[148:149], v[128:129], s[12:13], v[22:23]
	v_fma_f64 v[22:23], v[128:129], s[12:13], -v[22:23]
	v_add_f64 v[26:27], v[148:149], v[26:27]
	s_delay_alu instid0(VALU_DEP_2) | instskip(SKIP_1) | instid1(VALU_DEP_1)
	v_add_f64 v[22:23], v[22:23], v[30:31]
	v_mul_f64 v[30:31], v[58:59], s[40:41]
	v_fma_f64 v[32:33], v[40:41], s[12:13], -v[30:31]
	v_fma_f64 v[30:31], v[40:41], s[12:13], v[30:31]
	s_delay_alu instid0(VALU_DEP_2) | instskip(SKIP_1) | instid1(VALU_DEP_3)
	v_add_f64 v[28:29], v[32:33], v[28:29]
	v_fma_f64 v[32:33], v[42:43], s[12:13], v[80:81]
	v_add_f64 v[30:31], v[30:31], v[136:137]
	v_fma_f64 v[80:81], v[42:43], s[12:13], -v[80:81]
	v_mul_f64 v[136:137], v[64:65], s[28:29]
	v_mul_f64 v[64:65], v[64:65], s[24:25]
	v_add_f64 v[28:29], v[34:35], v[28:29]
	v_add_f64 v[32:33], v[32:33], v[91:92]
	v_fma_f64 v[34:35], v[46:47], s[20:21], v[84:85]
	v_mul_f64 v[91:92], v[76:77], s[46:47]
	v_add_f64 v[80:81], v[80:81], v[138:139]
	v_add_f64 v[30:31], v[82:83], v[30:31]
	v_fma_f64 v[82:83], v[46:47], s[20:21], -v[84:85]
	v_mul_f64 v[138:139], v[68:69], s[46:47]
	v_mul_f64 v[68:69], v[68:69], s[44:45]
	v_add_f64 v[32:33], v[34:35], v[32:33]
	v_fma_f64 v[34:35], v[48:49], s[16:17], -v[86:87]
	v_add_f64 v[80:81], v[82:83], v[80:81]
	v_fma_f64 v[82:83], v[48:49], s[16:17], v[86:87]
	s_delay_alu instid0(VALU_DEP_3) | instskip(SKIP_1) | instid1(VALU_DEP_3)
	v_add_f64 v[28:29], v[34:35], v[28:29]
	v_fma_f64 v[34:35], v[50:51], s[16:17], v[89:90]
	v_add_f64 v[30:31], v[82:83], v[30:31]
	v_fma_f64 v[82:83], v[50:51], s[16:17], -v[89:90]
	v_mul_f64 v[89:90], v[60:61], s[36:37]
	v_mul_f64 v[60:61], v[60:61], s[38:39]
	v_add_f64 v[32:33], v[34:35], v[32:33]
	v_fma_f64 v[34:35], v[54:55], s[10:11], -v[91:92]
	v_add_f64 v[80:81], v[82:83], v[80:81]
	v_fma_f64 v[82:83], v[54:55], s[10:11], v[91:92]
	v_mul_f64 v[91:92], v[62:63], s[28:29]
	v_mul_f64 v[62:63], v[62:63], s[24:25]
	v_add_f64 v[28:29], v[34:35], v[28:29]
	v_fma_f64 v[34:35], v[66:67], s[10:11], v[144:145]
	v_add_f64 v[30:31], v[82:83], v[30:31]
	v_fma_f64 v[82:83], v[66:67], s[10:11], -v[144:145]
	v_fma_f64 v[86:87], v[44:45], s[18:19], -v[91:92]
	v_mul_f64 v[144:145], v[130:131], s[38:39]
	v_add_f64 v[34:35], v[34:35], v[32:33]
	v_fma_f64 v[32:33], v[70:71], s[18:19], -v[146:147]
	v_add_f64 v[80:81], v[82:83], v[80:81]
	v_fma_f64 v[82:83], v[70:71], s[18:19], v[146:147]
	v_mul_f64 v[146:147], v[132:133], s[22:23]
	s_delay_alu instid0(VALU_DEP_4) | instskip(SKIP_1) | instid1(VALU_DEP_1)
	v_add_f64 v[32:33], v[32:33], v[28:29]
	v_mul_f64 v[28:29], v[134:135], s[44:45]
	v_fma_f64 v[84:85], v[128:129], s[18:19], -v[28:29]
	v_fma_f64 v[148:149], v[128:129], s[18:19], v[28:29]
	v_add_f64 v[28:29], v[82:83], v[30:31]
	s_delay_alu instid0(VALU_DEP_3) | instskip(SKIP_4) | instid1(VALU_DEP_4)
	v_add_f64 v[30:31], v[84:85], v[80:81]
	v_mul_f64 v[80:81], v[58:59], s[36:37]
	v_fma_f64 v[84:85], v[42:43], s[16:17], v[89:90]
	v_add_f64 v[34:35], v[148:149], v[34:35]
	v_mul_f64 v[58:59], v[58:59], s[38:39]
	v_fma_f64 v[82:83], v[40:41], s[16:17], -v[80:81]
	v_fma_f64 v[80:81], v[40:41], s[16:17], v[80:81]
	v_add_f64 v[84:85], v[84:85], v[142:143]
	v_mul_f64 v[142:143], v[76:77], s[38:39]
	s_delay_alu instid0(VALU_DEP_4) | instskip(NEXT) | instid1(VALU_DEP_4)
	v_add_f64 v[82:83], v[82:83], v[140:141]
	v_add_f64 v[78:79], v[80:81], v[78:79]
	v_fma_f64 v[80:81], v[42:43], s[16:17], -v[89:90]
	v_mul_f64 v[140:141], v[72:73], s[46:47]
	v_mul_f64 v[72:73], v[72:73], s[44:45]
	v_add_f64 v[82:83], v[86:87], v[82:83]
	v_fma_f64 v[86:87], v[46:47], s[18:19], v[136:137]
	v_add_f64 v[74:75], v[80:81], v[74:75]
	v_fma_f64 v[80:81], v[44:45], s[18:19], v[91:92]
	s_delay_alu instid0(VALU_DEP_3) | instskip(SKIP_1) | instid1(VALU_DEP_3)
	v_add_f64 v[84:85], v[86:87], v[84:85]
	v_fma_f64 v[86:87], v[48:49], s[10:11], -v[138:139]
	v_add_f64 v[78:79], v[80:81], v[78:79]
	v_fma_f64 v[80:81], v[46:47], s[18:19], -v[136:137]
	s_delay_alu instid0(VALU_DEP_3) | instskip(SKIP_1) | instid1(VALU_DEP_3)
	v_add_f64 v[82:83], v[86:87], v[82:83]
	v_fma_f64 v[86:87], v[50:51], s[10:11], v[140:141]
	v_add_f64 v[74:75], v[80:81], v[74:75]
	v_fma_f64 v[80:81], v[48:49], s[10:11], v[138:139]
	v_add_f64 v[138:139], v[150:151], v[116:117]
	s_delay_alu instid0(VALU_DEP_4) | instskip(SKIP_1) | instid1(VALU_DEP_4)
	v_add_f64 v[84:85], v[86:87], v[84:85]
	v_fma_f64 v[86:87], v[54:55], s[20:21], -v[142:143]
	v_add_f64 v[78:79], v[80:81], v[78:79]
	v_fma_f64 v[80:81], v[50:51], s[10:11], -v[140:141]
	s_delay_alu instid0(VALU_DEP_3) | instskip(SKIP_1) | instid1(VALU_DEP_3)
	v_add_f64 v[82:83], v[86:87], v[82:83]
	v_fma_f64 v[86:87], v[66:67], s[20:21], v[144:145]
	v_add_f64 v[74:75], v[80:81], v[74:75]
	v_fma_f64 v[80:81], v[54:55], s[20:21], v[142:143]
	v_add_f64 v[142:143], v[212:213], v[230:231]
	s_delay_alu instid0(VALU_DEP_4) | instskip(SKIP_1) | instid1(VALU_DEP_4)
	v_add_f64 v[86:87], v[86:87], v[84:85]
	v_fma_f64 v[84:85], v[70:71], s[14:15], -v[146:147]
	v_add_f64 v[78:79], v[80:81], v[78:79]
	v_fma_f64 v[80:81], v[66:67], s[20:21], -v[144:145]
	v_add_f64 v[144:145], v[232:233], -v[154:155]
	s_delay_alu instid0(VALU_DEP_4) | instskip(SKIP_1) | instid1(VALU_DEP_4)
	v_add_f64 v[84:85], v[84:85], v[82:83]
	v_mul_f64 v[82:83], v[134:135], s[22:23]
	v_add_f64 v[74:75], v[80:81], v[74:75]
	v_fma_f64 v[80:81], v[70:71], s[14:15], v[146:147]
	v_mul_f64 v[140:141], v[144:145], s[30:31]
	v_add_f64 v[146:147], v[214:215], v[152:153]
	v_fma_f64 v[148:149], v[128:129], s[14:15], v[82:83]
	v_fma_f64 v[82:83], v[128:129], s[14:15], -v[82:83]
	v_add_f64 v[80:81], v[80:81], v[78:79]
	s_delay_alu instid0(VALU_DEP_3) | instskip(NEXT) | instid1(VALU_DEP_3)
	v_add_f64 v[86:87], v[148:149], v[86:87]
	v_add_f64 v[82:83], v[82:83], v[74:75]
	v_fma_f64 v[74:75], v[40:41], s[20:21], -v[58:59]
	v_fma_f64 v[40:41], v[40:41], s[20:21], v[58:59]
	s_delay_alu instid0(VALU_DEP_2) | instskip(SKIP_2) | instid1(VALU_DEP_4)
	v_add_f64 v[56:57], v[74:75], v[56:57]
	v_fma_f64 v[74:75], v[42:43], s[20:21], v[60:61]
	v_fma_f64 v[42:43], v[42:43], s[20:21], -v[60:61]
	v_add_f64 v[36:37], v[40:41], v[36:37]
	v_fma_f64 v[40:41], v[48:49], s[18:19], v[68:69]
	v_mul_f64 v[60:61], v[240:241], s[38:39]
	v_add_f64 v[52:53], v[74:75], v[52:53]
	v_fma_f64 v[74:75], v[44:45], s[12:13], -v[62:63]
	v_fma_f64 v[44:45], v[44:45], s[12:13], v[62:63]
	v_add_f64 v[38:39], v[42:43], v[38:39]
	v_fma_f64 v[42:43], v[50:51], s[18:19], -v[72:73]
	s_delay_alu instid0(VALU_DEP_4) | instskip(SKIP_3) | instid1(VALU_DEP_3)
	v_add_f64 v[56:57], v[74:75], v[56:57]
	v_fma_f64 v[74:75], v[46:47], s[12:13], v[64:65]
	v_fma_f64 v[46:47], v[46:47], s[12:13], -v[64:65]
	v_add_f64 v[36:37], v[44:45], v[36:37]
	v_add_f64 v[52:53], v[74:75], v[52:53]
	v_fma_f64 v[74:75], v[48:49], s[18:19], -v[68:69]
	s_delay_alu instid0(VALU_DEP_4) | instskip(NEXT) | instid1(VALU_DEP_4)
	v_add_f64 v[38:39], v[46:47], v[38:39]
	v_add_f64 v[36:37], v[40:41], v[36:37]
	v_mul_f64 v[68:69], v[242:243], s[28:29]
	s_delay_alu instid0(VALU_DEP_4) | instskip(SKIP_3) | instid1(VALU_DEP_3)
	v_add_f64 v[56:57], v[74:75], v[56:57]
	v_fma_f64 v[74:75], v[50:51], s[18:19], v[72:73]
	v_add_f64 v[38:39], v[42:43], v[38:39]
	v_mul_f64 v[50:51], v[240:241], s[40:41]
	v_add_f64 v[52:53], v[74:75], v[52:53]
	v_mul_f64 v[74:75], v[76:77], s[22:23]
	s_delay_alu instid0(VALU_DEP_1) | instskip(SKIP_2) | instid1(VALU_DEP_3)
	v_fma_f64 v[76:77], v[54:55], s[14:15], -v[74:75]
	v_fma_f64 v[44:45], v[54:55], s[14:15], v[74:75]
	v_add_f64 v[74:75], v[212:213], -v[230:231]
	v_add_f64 v[56:57], v[76:77], v[56:57]
	v_mul_f64 v[76:77], v[130:131], s[22:23]
	v_mul_f64 v[130:131], v[134:135], s[36:37]
	v_add_f64 v[36:37], v[44:45], v[36:37]
	v_add_f64 v[134:135], v[238:239], v[224:225]
	v_mul_f64 v[148:149], v[74:75], s[34:35]
	v_fma_f64 v[78:79], v[66:67], s[14:15], v[76:77]
	v_fma_f64 v[46:47], v[66:67], s[14:15], -v[76:77]
	v_fma_f64 v[42:43], v[128:129], s[16:17], -v[130:131]
	s_delay_alu instid0(VALU_DEP_3) | instskip(SKIP_1) | instid1(VALU_DEP_4)
	v_add_f64 v[52:53], v[78:79], v[52:53]
	v_mul_f64 v[78:79], v[132:133], s[36:37]
	v_add_f64 v[38:39], v[46:47], v[38:39]
	v_add_f64 v[132:133], v[114:115], v[98:99]
	v_add_f64 v[46:47], v[158:159], -v[210:211]
	s_delay_alu instid0(VALU_DEP_4)
	v_fma_f64 v[89:90], v[70:71], s[16:17], -v[78:79]
	v_fma_f64 v[40:41], v[70:71], s[16:17], v[78:79]
	v_add_f64 v[188:189], v[42:43], v[38:39]
	v_mul_f64 v[38:39], v[234:235], s[28:29]
	v_mul_f64 v[64:65], v[46:47], s[24:25]
	v_add_f64 v[90:91], v[89:90], v[56:57]
	v_fma_f64 v[56:57], v[128:129], s[16:17], v[130:131]
	v_add_f64 v[130:131], v[238:239], -v[224:225]
	v_add_f64 v[186:187], v[40:41], v[36:37]
	v_add_f64 v[128:129], v[236:237], v[216:217]
	s_clause 0x5
	scratch_store_b64 off, v[38:39], off offset:1124
	scratch_store_b64 off, v[154:155], off offset:1036
	;; [unrolled: 1-line block ×6, first 2 shown]
	v_add_f64 v[236:237], v[236:237], -v[216:217]
	v_add_f64 v[216:217], v[96:97], v[228:229]
	s_clause 0x1
	scratch_store_b64 off, v[96:97], off offset:592
	scratch_store_b64 off, v[228:229], off offset:1084
	v_add_f64 v[238:239], v[114:115], -v[98:99]
	v_add_f64 v[232:233], v[222:223], -v[226:227]
	v_add_f64 v[224:225], v[158:159], v[210:211]
	v_add_f64 v[228:229], v[222:223], v[226:227]
	v_mul_f64 v[154:155], v[246:247], s[36:37]
	v_add_f64 v[92:93], v[56:57], v[52:53]
	v_mul_f64 v[254:255], v[130:131], s[30:31]
	v_mul_f64 v[56:57], v[242:243], s[36:37]
	v_fma_f64 v[38:39], v[128:129], s[18:19], v[38:39]
	v_mul_f64 v[52:53], v[46:47], s[38:39]
	v_mul_f64 v[40:41], v[236:237], s[28:29]
	;; [unrolled: 1-line block ×5, first 2 shown]
	v_fma_f64 v[36:37], v[252:253], s[20:21], v[254:255]
	scratch_store_b64 off, v[40:41], off offset:1172 ; 8-byte Folded Spill
	v_fma_f64 v[40:41], v[216:217], s[18:19], -v[40:41]
	v_add_f64 v[36:37], v[0:1], v[36:37]
	s_delay_alu instid0(VALU_DEP_1) | instskip(SKIP_1) | instid1(VALU_DEP_1)
	v_add_f64 v[36:37], v[38:39], v[36:37]
	v_fma_f64 v[38:39], v[134:135], s[20:21], -v[140:141]
	v_add_f64 v[38:39], v[2:3], v[38:39]
	s_delay_alu instid0(VALU_DEP_1)
	v_add_f64 v[38:39], v[40:41], v[38:39]
	v_mul_f64 v[40:41], v[74:75], s[26:27]
	scratch_store_b64 off, v[40:41], off offset:1132 ; 8-byte Folded Spill
	v_fma_f64 v[40:41], v[132:133], s[16:17], v[40:41]
	s_clause 0x3
	scratch_store_b64 off, v[98:99], off offset:608
	scratch_store_b64 off, v[114:115], off offset:780
	scratch_store_b64 off, v[212:213], off offset:940
	scratch_store_b64 off, v[230:231], off offset:1100
	v_add_f64 v[212:213], v[156:157], v[160:161]
	v_mul_f64 v[230:231], v[144:145], s[22:23]
	v_add_f64 v[36:37], v[40:41], v[36:37]
	v_mul_f64 v[40:41], v[238:239], s[26:27]
	scratch_store_b64 off, v[40:41], off offset:1148 ; 8-byte Folded Spill
	v_fma_f64 v[40:41], v[142:143], s[16:17], -v[40:41]
	s_delay_alu instid0(VALU_DEP_1)
	v_add_f64 v[38:39], v[40:41], v[38:39]
	v_mul_f64 v[40:41], v[244:245], s[22:23]
	scratch_store_b64 off, v[40:41], off offset:1140 ; 8-byte Folded Spill
	v_fma_f64 v[40:41], v[138:139], s[14:15], v[40:41]
	s_clause 0x3
	scratch_store_b64 off, v[116:117], off offset:796
	scratch_store_b64 off, v[150:151], off offset:812
	;; [unrolled: 1-line block ×4, first 2 shown]
	v_mul_f64 v[214:215], v[144:145], s[28:29]
	v_mul_f64 v[152:153], v[244:245], s[40:41]
	;; [unrolled: 1-line block ×3, first 2 shown]
	v_add_f64 v[36:37], v[40:41], v[36:37]
	v_mul_f64 v[40:41], v[240:241], s[22:23]
	scratch_store_b64 off, v[40:41], off offset:1156 ; 8-byte Folded Spill
	v_fma_f64 v[40:41], v[146:147], s[14:15], -v[40:41]
	s_delay_alu instid0(VALU_DEP_1)
	v_add_f64 v[38:39], v[40:41], v[38:39]
	v_mul_f64 v[40:41], v[246:247], s[24:25]
	scratch_store_b64 off, v[40:41], off offset:1164 ; 8-byte Folded Spill
	v_fma_f64 v[40:41], v[212:213], s[12:13], v[40:41]
	s_clause 0x3
	scratch_store_b64 off, v[156:157], off offset:828
	scratch_store_b64 off, v[160:161], off offset:860
	;; [unrolled: 1-line block ×4, first 2 shown]
	v_add_f64 v[220:221], v[218:219], v[220:221]
	v_mul_f64 v[156:157], v[236:237], s[22:23]
	v_mul_f64 v[218:219], v[130:131], s[26:27]
	v_add_f64 v[36:37], v[40:41], v[36:37]
	v_mul_f64 v[40:41], v[242:243], s[24:25]
	scratch_store_b64 off, v[40:41], off offset:1180 ; 8-byte Folded Spill
	v_fma_f64 v[40:41], v[220:221], s[12:13], -v[40:41]
	s_delay_alu instid0(VALU_DEP_1)
	v_add_f64 v[38:39], v[40:41], v[38:39]
	v_mul_f64 v[40:41], v[232:233], s[34:35]
	scratch_store_b64 off, v[40:41], off offset:1188 ; 8-byte Folded Spill
	v_fma_f64 v[40:41], v[224:225], s[10:11], v[40:41]
	s_clause 0x3
	scratch_store_b64 off, v[158:159], off offset:844
	scratch_store_b64 off, v[210:211], off offset:908
	;; [unrolled: 1-line block ×4, first 2 shown]
	v_mul_f64 v[210:211], v[130:131], s[28:29]
	v_mul_f64 v[222:223], v[144:145], s[26:27]
	;; [unrolled: 1-line block ×4, first 2 shown]
	scratch_load_b32 v100, off, off         ; 4-byte Folded Reload
	v_add_f64 v[40:41], v[40:41], v[36:37]
	v_mul_f64 v[36:37], v[46:47], s[34:35]
	scratch_store_b64 off, v[36:37], off offset:1196 ; 8-byte Folded Spill
	v_fma_f64 v[36:37], v[228:229], s[10:11], -v[36:37]
	s_delay_alu instid0(VALU_DEP_1)
	v_add_f64 v[42:43], v[36:37], v[38:39]
	v_fma_f64 v[36:37], v[252:253], s[18:19], v[210:211]
	v_fma_f64 v[38:39], v[128:129], s[14:15], v[248:249]
	scratch_store_b128 off, v[40:43], off offset:116 ; 16-byte Folded Spill
	v_add_f64 v[36:37], v[0:1], v[36:37]
	v_fma_f64 v[40:41], v[216:217], s[14:15], -v[156:157]
	s_delay_alu instid0(VALU_DEP_2) | instskip(SKIP_1) | instid1(VALU_DEP_1)
	v_add_f64 v[36:37], v[38:39], v[36:37]
	v_fma_f64 v[38:39], v[134:135], s[18:19], -v[214:215]
	v_add_f64 v[38:39], v[2:3], v[38:39]
	s_delay_alu instid0(VALU_DEP_1) | instskip(SKIP_1) | instid1(VALU_DEP_1)
	v_add_f64 v[40:41], v[40:41], v[38:39]
	v_fma_f64 v[38:39], v[132:133], s[10:11], v[148:149]
	v_add_f64 v[36:37], v[38:39], v[36:37]
	v_mul_f64 v[38:39], v[238:239], s[34:35]
	s_delay_alu instid0(VALU_DEP_1) | instskip(NEXT) | instid1(VALU_DEP_1)
	v_fma_f64 v[42:43], v[142:143], s[10:11], -v[38:39]
	v_add_f64 v[40:41], v[42:43], v[40:41]
	v_fma_f64 v[42:43], v[138:139], s[12:13], v[152:153]
	s_delay_alu instid0(VALU_DEP_1) | instskip(SKIP_1) | instid1(VALU_DEP_1)
	v_add_f64 v[36:37], v[42:43], v[36:37]
	v_fma_f64 v[42:43], v[146:147], s[12:13], -v[50:51]
	v_add_f64 v[40:41], v[42:43], v[40:41]
	v_fma_f64 v[42:43], v[212:213], s[16:17], v[154:155]
	s_delay_alu instid0(VALU_DEP_1) | instskip(SKIP_1) | instid1(VALU_DEP_1)
	v_add_f64 v[36:37], v[42:43], v[36:37]
	;; [unrolled: 5-line block ×3, first 2 shown]
	v_fma_f64 v[36:37], v[228:229], s[20:21], -v[52:53]
	v_add_f64 v[44:45], v[36:37], v[40:41]
	v_fma_f64 v[36:37], v[252:253], s[16:17], v[218:219]
	v_fma_f64 v[40:41], v[128:129], s[10:11], v[250:251]
	scratch_store_b128 off, v[42:45], off offset:100 ; 16-byte Folded Spill
	v_add_f64 v[36:37], v[0:1], v[36:37]
	v_fma_f64 v[42:43], v[216:217], s[10:11], -v[48:49]
	s_delay_alu instid0(VALU_DEP_2) | instskip(SKIP_1) | instid1(VALU_DEP_1)
	v_add_f64 v[36:37], v[40:41], v[36:37]
	v_fma_f64 v[40:41], v[134:135], s[16:17], -v[222:223]
	v_add_f64 v[40:41], v[2:3], v[40:41]
	s_delay_alu instid0(VALU_DEP_1) | instskip(SKIP_1) | instid1(VALU_DEP_1)
	v_add_f64 v[40:41], v[42:43], v[40:41]
	v_fma_f64 v[42:43], v[132:133], s[14:15], v[158:159]
	v_add_f64 v[36:37], v[42:43], v[36:37]
	v_fma_f64 v[42:43], v[142:143], s[14:15], -v[54:55]
	s_delay_alu instid0(VALU_DEP_1) | instskip(SKIP_1) | instid1(VALU_DEP_1)
	v_add_f64 v[40:41], v[42:43], v[40:41]
	v_mul_f64 v[42:43], v[244:245], s[38:39]
	v_fma_f64 v[44:45], v[138:139], s[20:21], v[42:43]
	s_delay_alu instid0(VALU_DEP_1) | instskip(SKIP_1) | instid1(VALU_DEP_1)
	v_add_f64 v[36:37], v[44:45], v[36:37]
	v_fma_f64 v[44:45], v[146:147], s[20:21], -v[60:61]
	v_add_f64 v[40:41], v[44:45], v[40:41]
	v_mul_f64 v[44:45], v[246:247], s[28:29]
	s_delay_alu instid0(VALU_DEP_1) | instskip(NEXT) | instid1(VALU_DEP_1)
	v_fma_f64 v[58:59], v[212:213], s[18:19], v[44:45]
	v_add_f64 v[58:59], v[58:59], v[36:37]
	v_fma_f64 v[36:37], v[220:221], s[18:19], -v[68:69]
	s_delay_alu instid0(VALU_DEP_1) | instskip(SKIP_1) | instid1(VALU_DEP_1)
	v_add_f64 v[40:41], v[36:37], v[40:41]
	v_mul_f64 v[36:37], v[232:233], s[24:25]
	v_fma_f64 v[62:63], v[224:225], s[12:13], v[36:37]
	s_delay_alu instid0(VALU_DEP_1) | instskip(SKIP_1) | instid1(VALU_DEP_1)
	v_add_f64 v[70:71], v[62:63], v[58:59]
	v_fma_f64 v[58:59], v[228:229], s[12:13], -v[64:65]
	v_add_f64 v[72:73], v[58:59], v[40:41]
	v_fma_f64 v[40:41], v[252:253], s[14:15], v[226:227]
	scratch_store_b128 off, v[70:73], off offset:148 ; 16-byte Folded Spill
	v_add_f64 v[58:59], v[0:1], v[40:41]
	v_mul_f64 v[40:41], v[234:235], s[40:41]
	v_mul_f64 v[72:73], v[236:237], s[40:41]
	s_delay_alu instid0(VALU_DEP_2) | instskip(NEXT) | instid1(VALU_DEP_2)
	v_fma_f64 v[62:63], v[128:129], s[12:13], v[40:41]
	v_fma_f64 v[66:67], v[216:217], s[12:13], -v[72:73]
	s_delay_alu instid0(VALU_DEP_2) | instskip(SKIP_1) | instid1(VALU_DEP_1)
	v_add_f64 v[62:63], v[62:63], v[58:59]
	v_fma_f64 v[58:59], v[134:135], s[14:15], -v[230:231]
	v_add_f64 v[58:59], v[2:3], v[58:59]
	s_delay_alu instid0(VALU_DEP_1) | instskip(SKIP_1) | instid1(VALU_DEP_1)
	v_add_f64 v[66:67], v[66:67], v[58:59]
	v_mul_f64 v[58:59], v[74:75], s[38:39]
	v_fma_f64 v[70:71], v[132:133], s[20:21], v[58:59]
	s_delay_alu instid0(VALU_DEP_1) | instskip(SKIP_1) | instid1(VALU_DEP_1)
	v_add_f64 v[62:63], v[70:71], v[62:63]
	v_fma_f64 v[70:71], v[142:143], s[20:21], -v[76:77]
	v_add_f64 v[70:71], v[70:71], v[66:67]
	v_mul_f64 v[66:67], v[244:245], s[26:27]
	s_delay_alu instid0(VALU_DEP_1) | instskip(NEXT) | instid1(VALU_DEP_1)
	v_fma_f64 v[78:79], v[138:139], s[16:17], v[66:67]
	v_add_f64 v[62:63], v[78:79], v[62:63]
	v_mul_f64 v[78:79], v[240:241], s[26:27]
	s_delay_alu instid0(VALU_DEP_1) | instskip(NEXT) | instid1(VALU_DEP_1)
	v_fma_f64 v[136:137], v[146:147], s[16:17], -v[78:79]
	v_add_f64 v[160:161], v[136:137], v[70:71]
	v_mul_f64 v[70:71], v[246:247], s[46:47]
	s_delay_alu instid0(VALU_DEP_1) | instskip(NEXT) | instid1(VALU_DEP_1)
	v_fma_f64 v[136:137], v[212:213], s[10:11], v[70:71]
	v_add_f64 v[96:97], v[136:137], v[62:63]
	v_mul_f64 v[136:137], v[242:243], s[46:47]
	s_delay_alu instid0(VALU_DEP_1) | instskip(NEXT) | instid1(VALU_DEP_1)
	;; [unrolled: 8-line block ×3, first 2 shown]
	v_fma_f64 v[96:97], v[228:229], s[18:19], -v[160:161]
	v_add_f64 v[116:117], v[96:97], v[98:99]
	s_clause 0x1
	scratch_load_b64 v[96:97], off, off offset:560
	scratch_load_b64 v[98:99], off, off offset:576
	s_waitcnt vmcnt(1)
	v_add_f64 v[96:97], v[96:97], v[174:175]
	v_mul_f64 v[174:175], v[246:247], s[38:39]
	s_delay_alu instid0(VALU_DEP_2) | instskip(SKIP_1) | instid1(VALU_DEP_2)
	v_add_f64 v[96:97], v[96:97], v[180:181]
	v_mul_f64 v[180:181], v[240:241], s[46:47]
	v_add_f64 v[96:97], v[96:97], v[162:163]
	v_mul_f64 v[162:163], v[234:235], s[36:37]
	s_delay_alu instid0(VALU_DEP_2) | instskip(NEXT) | instid1(VALU_DEP_1)
	v_add_f64 v[96:97], v[96:97], v[194:195]
	v_add_f64 v[96:97], v[96:97], v[198:199]
	s_delay_alu instid0(VALU_DEP_1) | instskip(NEXT) | instid1(VALU_DEP_1)
	v_add_f64 v[96:97], v[96:97], v[202:203]
	v_add_f64 v[96:97], v[96:97], v[206:207]
	s_delay_alu instid0(VALU_DEP_1) | instskip(SKIP_1) | instid1(VALU_DEP_2)
	v_add_f64 v[96:97], v[96:97], v[192:193]
	v_mul_f64 v[192:193], v[144:145], s[24:25]
	v_add_f64 v[96:97], v[96:97], v[184:185]
	v_mul_f64 v[184:185], v[242:243], s[38:39]
	s_delay_alu instid0(VALU_DEP_2) | instskip(SKIP_1) | instid1(VALU_DEP_2)
	v_add_f64 v[96:97], v[96:97], v[178:179]
	v_mul_f64 v[178:179], v[238:239], s[28:29]
	v_add_f64 v[194:195], v[96:97], v[170:171]
	scratch_load_b64 v[96:97], off, off offset:532 ; 8-byte Folded Reload
	s_waitcnt vmcnt(1)
	v_add_f64 v[98:99], v[98:99], v[176:177]
	v_mul_f64 v[176:177], v[236:237], s[36:37]
	v_lshrrev_b32_e32 v89, 2, v100
	s_clause 0x1
	scratch_store_b128 off, v[114:117], off offset:164
	scratch_store_b32 off, v101, off offset:532
	s_waitcnt vmcnt(0)
	s_waitcnt_vscnt null, 0x0
	s_barrier
	v_mul_u32_u24_e32 v89, 52, v89
	buffer_gl0_inv
	v_mul_f64 v[170:171], v[232:233], s[22:23]
	v_or_b32_e32 v89, v89, v101
	s_delay_alu instid0(VALU_DEP_1)
	v_lshlrev_b32_e32 v89, 4, v89
	ds_store_b128 v89, v[16:19] offset:128
	ds_store_b128 v89, v[24:27] offset:192
	;; [unrolled: 1-line block ×12, first 2 shown]
	scratch_load_b32 v4, off, off offset:556 ; 4-byte Folded Reload
	v_add_f64 v[98:99], v[98:99], v[182:183]
	v_mul_f64 v[182:183], v[46:47], s[22:23]
	s_delay_alu instid0(VALU_DEP_2) | instskip(SKIP_1) | instid1(VALU_DEP_2)
	v_add_f64 v[98:99], v[98:99], v[190:191]
	v_mul_f64 v[190:191], v[130:131], s[24:25]
	v_add_f64 v[98:99], v[98:99], v[196:197]
	s_delay_alu instid0(VALU_DEP_1) | instskip(NEXT) | instid1(VALU_DEP_1)
	v_add_f64 v[98:99], v[98:99], v[200:201]
	v_add_f64 v[98:99], v[98:99], v[204:205]
	s_delay_alu instid0(VALU_DEP_1) | instskip(NEXT) | instid1(VALU_DEP_1)
	v_add_f64 v[98:99], v[98:99], v[208:209]
	v_add_f64 v[94:95], v[98:99], v[94:95]
	v_fma_f64 v[98:99], v[216:217], s[16:17], -v[176:177]
	s_delay_alu instid0(VALU_DEP_2) | instskip(SKIP_1) | instid1(VALU_DEP_2)
	v_add_f64 v[94:95], v[94:95], v[168:169]
	v_mul_f64 v[168:169], v[74:75], s[28:29]
	v_add_f64 v[94:95], v[94:95], v[172:173]
	v_mul_f64 v[172:173], v[244:245], s[46:47]
	s_waitcnt vmcnt(0)
	v_lshrrev_b32_e32 v4, 2, v4
	s_clause 0x1
	scratch_store_b32 off, v89, off offset:624
	scratch_store_b32 off, v4, off offset:556
	v_add_f64 v[196:197], v[94:95], v[96:97]
	v_fma_f64 v[94:95], v[252:253], s[12:13], v[190:191]
	v_fma_f64 v[96:97], v[128:129], s[16:17], v[162:163]
	ds_store_b128 v89, v[194:197]
	v_add_f64 v[94:95], v[0:1], v[94:95]
	s_delay_alu instid0(VALU_DEP_1) | instskip(SKIP_1) | instid1(VALU_DEP_1)
	v_add_f64 v[94:95], v[96:97], v[94:95]
	v_fma_f64 v[96:97], v[134:135], s[12:13], -v[192:193]
	v_add_f64 v[96:97], v[2:3], v[96:97]
	s_delay_alu instid0(VALU_DEP_1) | instskip(SKIP_1) | instid1(VALU_DEP_1)
	v_add_f64 v[96:97], v[98:99], v[96:97]
	v_fma_f64 v[98:99], v[132:133], s[18:19], v[168:169]
	v_add_f64 v[94:95], v[98:99], v[94:95]
	v_fma_f64 v[98:99], v[142:143], s[18:19], -v[178:179]
	s_delay_alu instid0(VALU_DEP_1) | instskip(SKIP_1) | instid1(VALU_DEP_1)
	v_add_f64 v[96:97], v[98:99], v[96:97]
	v_fma_f64 v[98:99], v[138:139], s[10:11], v[172:173]
	v_add_f64 v[94:95], v[98:99], v[94:95]
	v_fma_f64 v[98:99], v[146:147], s[10:11], -v[180:181]
	;; [unrolled: 5-line block ×4, first 2 shown]
	s_delay_alu instid0(VALU_DEP_1)
	v_add_f64 v[116:117], v[94:95], v[96:97]
	s_and_saveexec_b32 s1, s0
	s_cbranch_execz .LBB0_15
; %bb.14:
	scratch_load_b64 v[34:35], off, off offset:1116 ; 8-byte Folded Reload
	v_mul_f64 v[12:13], v[134:135], s[14:15]
	v_mul_f64 v[16:17], v[134:135], s[16:17]
	;; [unrolled: 1-line block ×12, first 2 shown]
	v_add_f64 v[32:33], v[2:3], v[126:127]
	v_mul_f64 v[94:95], v[232:233], s[36:37]
	v_mul_f64 v[96:97], v[228:229], s[16:17]
	v_add_f64 v[12:13], v[230:231], v[12:13]
	v_add_f64 v[16:17], v[222:223], v[16:17]
	v_fma_f64 v[6:7], v[144:145], s[46:47], v[4:5]
	v_add_f64 v[10:11], v[10:11], -v[190:191]
	v_add_f64 v[14:15], v[14:15], -v[226:227]
	;; [unrolled: 1-line block ×4, first 2 shown]
	v_fma_f64 v[28:29], v[252:253], s[10:11], v[26:27]
	v_fma_f64 v[26:27], v[252:253], s[10:11], -v[26:27]
	v_add_f64 v[30:31], v[30:31], -v[254:255]
	v_add_f64 v[8:9], v[192:193], v[8:9]
	v_add_f64 v[20:21], v[214:215], v[20:21]
	;; [unrolled: 1-line block ×3, first 2 shown]
	v_fma_f64 v[4:5], v[144:145], s[34:35], v[4:5]
	v_add_f64 v[84:85], v[2:3], v[12:13]
	v_add_f64 v[12:13], v[2:3], v[16:17]
	v_mul_f64 v[16:17], v[216:217], s[20:21]
	v_add_f64 v[6:7], v[2:3], v[6:7]
	v_add_f64 v[82:83], v[0:1], v[10:11]
	;; [unrolled: 1-line block ×8, first 2 shown]
	v_mul_f64 v[18:19], v[142:143], s[12:13]
	v_add_f64 v[80:81], v[2:3], v[8:9]
	v_add_f64 v[8:9], v[2:3], v[20:21]
	;; [unrolled: 1-line block ×4, first 2 shown]
	v_fma_f64 v[24:25], v[238:239], s[40:41], v[18:19]
	v_fma_f64 v[18:19], v[238:239], s[24:25], v[18:19]
	s_waitcnt vmcnt(0)
	v_add_f64 v[34:35], v[0:1], v[34:35]
	v_fma_f64 v[0:1], v[236:237], s[30:31], v[16:17]
	v_fma_f64 v[16:17], v[236:237], s[38:39], v[16:17]
	s_delay_alu instid0(VALU_DEP_2) | instskip(SKIP_1) | instid1(VALU_DEP_3)
	v_add_f64 v[0:1], v[0:1], v[6:7]
	v_mul_f64 v[6:7], v[234:235], s[38:39]
	v_add_f64 v[4:5], v[16:17], v[4:5]
	s_delay_alu instid0(VALU_DEP_3) | instskip(NEXT) | instid1(VALU_DEP_3)
	v_add_f64 v[0:1], v[24:25], v[0:1]
	v_fma_f64 v[2:3], v[128:129], s[20:21], v[6:7]
	v_mul_f64 v[24:25], v[74:75], s[24:25]
	v_fma_f64 v[6:7], v[128:129], s[20:21], -v[6:7]
	v_add_f64 v[4:5], v[18:19], v[4:5]
	v_fma_f64 v[18:19], v[224:225], s[16:17], -v[94:95]
	v_add_f64 v[2:3], v[2:3], v[28:29]
	v_fma_f64 v[28:29], v[132:133], s[12:13], v[24:25]
	v_add_f64 v[6:7], v[6:7], v[26:27]
	v_fma_f64 v[16:17], v[132:133], s[12:13], -v[24:25]
	v_mul_f64 v[24:25], v[142:143], s[10:11]
	v_mul_f64 v[26:27], v[132:133], s[10:11]
	v_add_f64 v[2:3], v[28:29], v[2:3]
	v_mul_f64 v[28:29], v[146:147], s[18:19]
	v_add_f64 v[6:7], v[16:17], v[6:7]
	v_add_f64 v[24:25], v[38:39], v[24:25]
	v_add_f64 v[26:27], v[26:27], -v[148:149]
	v_mul_f64 v[38:39], v[220:221], s[16:17]
	v_fma_f64 v[30:31], v[240:241], s[28:29], v[28:29]
	v_fma_f64 v[28:29], v[240:241], s[44:45], v[28:29]
	s_delay_alu instid0(VALU_DEP_3)
	v_add_f64 v[38:39], v[56:57], v[38:39]
	scratch_load_b64 v[56:57], off, off offset:1132 ; 8-byte Folded Reload
	v_add_f64 v[0:1], v[30:31], v[0:1]
	v_mul_f64 v[30:31], v[244:245], s[44:45]
	v_add_f64 v[4:5], v[28:29], v[4:5]
	v_mul_f64 v[28:29], v[146:147], s[12:13]
	s_delay_alu instid0(VALU_DEP_3) | instskip(SKIP_2) | instid1(VALU_DEP_4)
	v_fma_f64 v[74:75], v[138:139], s[18:19], v[30:31]
	v_fma_f64 v[16:17], v[138:139], s[18:19], -v[30:31]
	v_mul_f64 v[30:31], v[138:139], s[12:13]
	v_add_f64 v[28:29], v[50:51], v[28:29]
	scratch_load_b64 v[50:51], off, off offset:1172 ; 8-byte Folded Reload
	v_add_f64 v[2:3], v[74:75], v[2:3]
	v_mul_f64 v[74:75], v[220:221], s[14:15]
	v_add_f64 v[6:7], v[16:17], v[6:7]
	v_add_f64 v[30:31], v[30:31], -v[152:153]
	s_delay_alu instid0(VALU_DEP_3) | instskip(SKIP_1) | instid1(VALU_DEP_2)
	v_fma_f64 v[90:91], v[242:243], s[42:43], v[74:75]
	v_fma_f64 v[74:75], v[242:243], s[22:23], v[74:75]
	v_add_f64 v[0:1], v[90:91], v[0:1]
	v_mul_f64 v[90:91], v[246:247], s[22:23]
	s_delay_alu instid0(VALU_DEP_3) | instskip(NEXT) | instid1(VALU_DEP_2)
	v_add_f64 v[4:5], v[74:75], v[4:5]
	v_fma_f64 v[92:93], v[212:213], s[14:15], v[90:91]
	v_fma_f64 v[16:17], v[212:213], s[14:15], -v[90:91]
	s_delay_alu instid0(VALU_DEP_2) | instskip(SKIP_2) | instid1(VALU_DEP_4)
	v_add_f64 v[92:93], v[92:93], v[2:3]
	v_fma_f64 v[2:3], v[46:47], s[26:27], v[96:97]
	v_fma_f64 v[46:47], v[46:47], s[36:37], v[96:97]
	v_add_f64 v[16:17], v[16:17], v[6:7]
	s_delay_alu instid0(VALU_DEP_3) | instskip(NEXT) | instid1(VALU_DEP_3)
	v_add_f64 v[2:3], v[2:3], v[0:1]
	v_add_f64 v[6:7], v[46:47], v[4:5]
	s_delay_alu instid0(VALU_DEP_3) | instskip(SKIP_4) | instid1(VALU_DEP_4)
	v_add_f64 v[4:5], v[18:19], v[16:17]
	v_mul_f64 v[16:17], v[216:217], s[14:15]
	v_mul_f64 v[18:19], v[128:129], s[14:15]
	;; [unrolled: 1-line block ×3, first 2 shown]
	v_fma_f64 v[0:1], v[224:225], s[16:17], v[94:95]
	v_add_f64 v[16:17], v[156:157], v[16:17]
	s_delay_alu instid0(VALU_DEP_4) | instskip(NEXT) | instid1(VALU_DEP_4)
	v_add_f64 v[18:19], v[18:19], -v[248:249]
	v_add_f64 v[46:47], v[46:47], -v[170:171]
	s_delay_alu instid0(VALU_DEP_4) | instskip(NEXT) | instid1(VALU_DEP_4)
	v_add_f64 v[0:1], v[0:1], v[92:93]
	v_add_f64 v[8:9], v[16:17], v[8:9]
	s_delay_alu instid0(VALU_DEP_4) | instskip(SKIP_2) | instid1(VALU_DEP_4)
	v_add_f64 v[10:11], v[18:19], v[10:11]
	v_mul_f64 v[16:17], v[212:213], s[16:17]
	v_mul_f64 v[18:19], v[228:229], s[20:21]
	v_add_f64 v[8:9], v[24:25], v[8:9]
	s_delay_alu instid0(VALU_DEP_4) | instskip(NEXT) | instid1(VALU_DEP_4)
	v_add_f64 v[10:11], v[26:27], v[10:11]
	v_add_f64 v[16:17], v[16:17], -v[154:155]
	v_mul_f64 v[24:25], v[224:225], s[20:21]
	v_add_f64 v[18:19], v[52:53], v[18:19]
	v_mul_f64 v[26:27], v[132:133], s[14:15]
	scratch_load_b64 v[52:53], off, off offset:1124 ; 8-byte Folded Reload
	v_add_f64 v[8:9], v[28:29], v[8:9]
	v_add_f64 v[10:11], v[30:31], v[10:11]
	v_mul_f64 v[28:29], v[146:147], s[20:21]
	v_add_f64 v[24:25], v[24:25], -v[150:151]
	v_mul_f64 v[30:31], v[138:139], s[20:21]
	v_add_f64 v[26:27], v[26:27], -v[158:159]
	v_add_f64 v[8:9], v[38:39], v[8:9]
	v_add_f64 v[16:17], v[16:17], v[10:11]
	;; [unrolled: 1-line block ×3, first 2 shown]
	v_mul_f64 v[38:39], v[220:221], s[18:19]
	v_add_f64 v[30:31], v[30:31], -v[42:43]
	v_mul_f64 v[42:43], v[212:213], s[20:21]
	scratch_load_b64 v[60:61], off, off offset:1140 ; 8-byte Folded Reload
	v_add_f64 v[10:11], v[18:19], v[8:9]
	v_add_f64 v[8:9], v[24:25], v[16:17]
	v_mul_f64 v[16:17], v[216:217], s[10:11]
	v_mul_f64 v[18:19], v[128:129], s[10:11]
	;; [unrolled: 1-line block ×3, first 2 shown]
	v_add_f64 v[38:39], v[68:69], v[38:39]
	v_add_f64 v[42:43], v[42:43], -v[174:175]
	v_add_f64 v[16:17], v[48:49], v[16:17]
	v_add_f64 v[18:19], v[18:19], -v[250:251]
	v_add_f64 v[24:25], v[54:55], v[24:25]
	v_mul_f64 v[48:49], v[216:217], s[18:19]
	scratch_load_b64 v[54:55], off, off offset:1148 ; 8-byte Folded Reload
	v_add_f64 v[12:13], v[16:17], v[12:13]
	v_add_f64 v[14:15], v[18:19], v[14:15]
	v_mul_f64 v[16:17], v[212:213], s[18:19]
	v_mul_f64 v[18:19], v[228:229], s[12:13]
	s_waitcnt vmcnt(3)
	v_add_f64 v[48:49], v[50:51], v[48:49]
	scratch_load_b64 v[50:51], off, off offset:592 ; 8-byte Folded Reload
	v_add_f64 v[12:13], v[24:25], v[12:13]
	v_add_f64 v[14:15], v[26:27], v[14:15]
	v_add_f64 v[16:17], v[16:17], -v[44:45]
	v_mul_f64 v[24:25], v[224:225], s[12:13]
	v_add_f64 v[18:19], v[64:65], v[18:19]
	v_mul_f64 v[26:27], v[132:133], s[20:21]
	v_add_f64 v[20:21], v[48:49], v[20:21]
	scratch_load_b64 v[48:49], off, off offset:1004 ; 8-byte Folded Reload
	v_mul_f64 v[44:45], v[228:229], s[14:15]
	v_add_f64 v[12:13], v[28:29], v[12:13]
	v_add_f64 v[14:15], v[30:31], v[14:15]
	v_mul_f64 v[28:29], v[146:147], s[16:17]
	v_add_f64 v[24:25], v[24:25], -v[36:37]
	v_mul_f64 v[30:31], v[138:139], s[16:17]
	v_add_f64 v[26:27], v[26:27], -v[58:59]
	v_mul_f64 v[36:37], v[220:221], s[10:11]
	scratch_load_b64 v[58:59], off, off offset:1156 ; 8-byte Folded Reload
	v_add_f64 v[44:45], v[182:183], v[44:45]
	v_add_f64 v[12:13], v[38:39], v[12:13]
	;; [unrolled: 1-line block ×4, first 2 shown]
	v_mul_f64 v[38:39], v[212:213], s[10:11]
	v_add_f64 v[30:31], v[30:31], -v[66:67]
	v_add_f64 v[36:37], v[136:137], v[36:37]
	v_add_f64 v[14:15], v[18:19], v[12:13]
	;; [unrolled: 1-line block ×3, first 2 shown]
	v_mul_f64 v[16:17], v[216:217], s[12:13]
	v_mul_f64 v[18:19], v[128:129], s[12:13]
	;; [unrolled: 1-line block ×3, first 2 shown]
	v_add_f64 v[38:39], v[38:39], -v[70:71]
	s_delay_alu instid0(VALU_DEP_4) | instskip(NEXT) | instid1(VALU_DEP_4)
	v_add_f64 v[16:17], v[72:73], v[16:17]
	v_add_f64 v[18:19], v[18:19], -v[40:41]
	s_delay_alu instid0(VALU_DEP_4) | instskip(SKIP_1) | instid1(VALU_DEP_4)
	v_add_f64 v[24:25], v[76:77], v[24:25]
	v_mul_f64 v[40:41], v[220:221], s[20:21]
	v_add_f64 v[16:17], v[16:17], v[84:85]
	s_delay_alu instid0(VALU_DEP_4) | instskip(NEXT) | instid1(VALU_DEP_3)
	v_add_f64 v[18:19], v[18:19], v[86:87]
	v_add_f64 v[40:41], v[184:185], v[40:41]
	s_delay_alu instid0(VALU_DEP_3) | instskip(NEXT) | instid1(VALU_DEP_3)
	v_add_f64 v[16:17], v[24:25], v[16:17]
	v_add_f64 v[18:19], v[26:27], v[18:19]
	v_mul_f64 v[24:25], v[228:229], s[18:19]
	v_mul_f64 v[26:27], v[224:225], s[18:19]
	s_delay_alu instid0(VALU_DEP_4) | instskip(NEXT) | instid1(VALU_DEP_4)
	v_add_f64 v[16:17], v[28:29], v[16:17]
	v_add_f64 v[18:19], v[30:31], v[18:19]
	s_delay_alu instid0(VALU_DEP_4) | instskip(NEXT) | instid1(VALU_DEP_4)
	v_add_f64 v[24:25], v[160:161], v[24:25]
	v_add_f64 v[26:27], v[26:27], -v[62:63]
	v_mul_f64 v[30:31], v[132:133], s[18:19]
	scratch_load_b64 v[62:63], off, off offset:1180 ; 8-byte Folded Reload
	v_add_f64 v[16:17], v[36:37], v[16:17]
	v_add_f64 v[28:29], v[38:39], v[18:19]
	v_mul_f64 v[36:37], v[146:147], s[10:11]
	v_mul_f64 v[38:39], v[138:139], s[10:11]
	v_add_f64 v[30:31], v[30:31], -v[168:169]
	v_add_f64 v[18:19], v[24:25], v[16:17]
	v_add_f64 v[16:17], v[26:27], v[28:29]
	v_mul_f64 v[26:27], v[128:129], s[16:17]
	v_mul_f64 v[24:25], v[216:217], s[16:17]
	v_mul_f64 v[28:29], v[142:143], s[18:19]
	v_add_f64 v[36:37], v[180:181], v[36:37]
	v_add_f64 v[38:39], v[38:39], -v[172:173]
	v_add_f64 v[26:27], v[26:27], -v[162:163]
	v_add_f64 v[24:25], v[176:177], v[24:25]
	v_add_f64 v[28:29], v[178:179], v[28:29]
	s_delay_alu instid0(VALU_DEP_3) | instskip(NEXT) | instid1(VALU_DEP_3)
	v_add_f64 v[26:27], v[26:27], v[82:83]
	v_add_f64 v[24:25], v[24:25], v[80:81]
	s_delay_alu instid0(VALU_DEP_2)
	v_add_f64 v[26:27], v[30:31], v[26:27]
	scratch_load_b64 v[30:31], off, off offset:796 ; 8-byte Folded Reload
	s_waitcnt vmcnt(4)
	v_add_f64 v[32:33], v[32:33], v[50:51]
	scratch_load_b64 v[50:51], off, off offset:1108 ; 8-byte Folded Reload
	v_add_f64 v[24:25], v[28:29], v[24:25]
	scratch_load_b64 v[28:29], off, off offset:876 ; 8-byte Folded Reload
	v_add_f64 v[26:27], v[38:39], v[26:27]
	v_add_f64 v[24:25], v[36:37], v[24:25]
	scratch_load_b64 v[36:37], off, off offset:1188 ; 8-byte Folded Reload
	v_add_f64 v[26:27], v[42:43], v[26:27]
	v_add_f64 v[24:25], v[40:41], v[24:25]
	s_waitcnt vmcnt(2)
	v_add_f64 v[34:35], v[34:35], v[50:51]
	v_mul_f64 v[50:51], v[128:129], s[18:19]
	s_delay_alu instid0(VALU_DEP_1)
	v_add_f64 v[50:51], v[50:51], -v[52:53]
	scratch_load_b64 v[52:53], off, off offset:940 ; 8-byte Folded Reload
	v_add_f64 v[22:23], v[50:51], v[22:23]
	scratch_load_b64 v[50:51], off, off offset:1164 ; 8-byte Folded Reload
	s_waitcnt vmcnt(1)
	v_add_f64 v[32:33], v[32:33], v[52:53]
	scratch_load_b64 v[52:53], off, off offset:780 ; 8-byte Folded Reload
	s_waitcnt vmcnt(0)
	v_add_f64 v[34:35], v[34:35], v[52:53]
	v_mul_f64 v[52:53], v[142:143], s[16:17]
	s_delay_alu instid0(VALU_DEP_1)
	v_add_f64 v[52:53], v[54:55], v[52:53]
	scratch_load_b64 v[54:55], off, off offset:956 ; 8-byte Folded Reload
	v_add_f64 v[20:21], v[52:53], v[20:21]
	s_waitcnt vmcnt(0)
	v_add_f64 v[32:33], v[32:33], v[54:55]
	scratch_load_b64 v[54:55], off, off offset:812 ; 8-byte Folded Reload
	s_waitcnt vmcnt(0)
	v_add_f64 v[34:35], v[34:35], v[54:55]
	v_mul_f64 v[54:55], v[132:133], s[16:17]
	s_delay_alu instid0(VALU_DEP_1)
	v_add_f64 v[54:55], v[54:55], -v[56:57]
	scratch_load_b64 v[56:57], off, off offset:972 ; 8-byte Folded Reload
	v_add_f64 v[22:23], v[54:55], v[22:23]
	s_waitcnt vmcnt(0)
	v_add_f64 v[32:33], v[32:33], v[56:57]
	scratch_load_b64 v[56:57], off, off offset:828 ; 8-byte Folded Reload
	s_waitcnt vmcnt(0)
	v_add_f64 v[34:35], v[34:35], v[56:57]
	v_mul_f64 v[56:57], v[146:147], s[14:15]
	s_delay_alu instid0(VALU_DEP_1)
	v_add_f64 v[56:57], v[58:59], v[56:57]
	scratch_load_b64 v[58:59], off, off offset:988 ; 8-byte Folded Reload
	v_add_f64 v[20:21], v[56:57], v[20:21]
	s_waitcnt vmcnt(0)
	v_add_f64 v[32:33], v[32:33], v[58:59]
	scratch_load_b64 v[58:59], off, off offset:844 ; 8-byte Folded Reload
	s_waitcnt vmcnt(0)
	v_add_f64 v[34:35], v[34:35], v[58:59]
	v_mul_f64 v[58:59], v[138:139], s[14:15]
	s_delay_alu instid0(VALU_DEP_1)
	v_add_f64 v[58:59], v[58:59], -v[60:61]
	scratch_load_b64 v[60:61], off, off offset:1020 ; 8-byte Folded Reload
	v_add_f64 v[22:23], v[58:59], v[22:23]
	s_waitcnt vmcnt(0)
	v_add_f64 v[32:33], v[32:33], v[60:61]
	scratch_load_b64 v[60:61], off, off offset:908 ; 8-byte Folded Reload
	v_add_f64 v[32:33], v[32:33], v[48:49]
	scratch_load_b64 v[48:49], off, off offset:860 ; 8-byte Folded Reload
	v_add_f64 v[28:29], v[32:33], v[28:29]
	v_mul_f64 v[32:33], v[228:229], s[10:11]
	s_waitcnt vmcnt(1)
	v_add_f64 v[34:35], v[34:35], v[60:61]
	v_mul_f64 v[60:61], v[220:221], s[12:13]
	s_waitcnt vmcnt(0)
	s_delay_alu instid0(VALU_DEP_2) | instskip(SKIP_1) | instid1(VALU_DEP_2)
	v_add_f64 v[34:35], v[34:35], v[48:49]
	v_mul_f64 v[48:49], v[212:213], s[12:13]
	v_add_f64 v[30:31], v[34:35], v[30:31]
	scratch_load_b64 v[34:35], off, off offset:1196 ; 8-byte Folded Reload
	s_waitcnt vmcnt(0)
	v_add_f64 v[32:33], v[34:35], v[32:33]
	scratch_load_b64 v[34:35], off, off offset:1100 ; 8-byte Folded Reload
	s_waitcnt vmcnt(0)
	v_add_f64 v[28:29], v[28:29], v[34:35]
	scratch_load_b64 v[34:35], off, off offset:608 ; 8-byte Folded Reload
	v_add_f64 v[60:61], v[62:63], v[60:61]
	s_waitcnt vmcnt(0)
	v_add_f64 v[30:31], v[30:31], v[34:35]
	v_mul_f64 v[34:35], v[224:225], s[10:11]
	s_delay_alu instid0(VALU_DEP_1) | instskip(NEXT) | instid1(VALU_DEP_4)
	v_add_f64 v[34:35], v[34:35], -v[36:37]
	v_add_f64 v[36:37], v[60:61], v[20:21]
	scratch_load_b64 v[20:21], off, off offset:1084 ; 8-byte Folded Reload
	s_waitcnt vmcnt(0)
	v_add_f64 v[28:29], v[28:29], v[20:21]
	scratch_load_b64 v[20:21], off, off offset:1052 ; 8-byte Folded Reload
	s_waitcnt vmcnt(0)
	v_add_f64 v[40:41], v[30:31], v[20:21]
	v_add_f64 v[20:21], v[46:47], v[26:27]
	;; [unrolled: 1-line block ×3, first 2 shown]
	s_clause 0x1
	scratch_load_b32 v32, off, off offset:556
	scratch_load_b32 v33, off, off offset:532
	v_add_f64 v[48:49], v[48:49], -v[50:51]
	scratch_load_b64 v[30:31], off, off offset:1068 ; 8-byte Folded Reload
	v_add_f64 v[38:39], v[48:49], v[22:23]
	v_add_f64 v[22:23], v[44:45], v[24:25]
	s_delay_alu instid0(VALU_DEP_2) | instskip(SKIP_3) | instid1(VALU_DEP_1)
	v_add_f64 v[24:25], v[34:35], v[38:39]
	s_waitcnt vmcnt(2)
	v_mul_u32_u24_e32 v32, 52, v32
	s_waitcnt vmcnt(1)
	v_or_b32_e32 v32, v32, v33
	scratch_load_b128 v[33:36], off, off offset:164 ; 16-byte Folded Reload
	v_lshlrev_b32_e32 v32, 4, v32
	ds_store_b128 v32, v[114:117] offset:512
	s_waitcnt vmcnt(0)
	ds_store_b128 v32, v[33:36] offset:576
	scratch_load_b128 v[33:36], off, off offset:148 ; 16-byte Folded Reload
	v_add_f64 v[30:31], v[28:29], v[30:31]
	scratch_load_b64 v[28:29], off, off offset:1036 ; 8-byte Folded Reload
	s_waitcnt vmcnt(1)
	ds_store_b128 v32, v[33:36] offset:640
	scratch_load_b128 v[33:36], off, off offset:100 ; 16-byte Folded Reload
	s_waitcnt vmcnt(1)
	v_add_f64 v[28:29], v[40:41], v[28:29]
	s_waitcnt vmcnt(0)
	ds_store_b128 v32, v[33:36] offset:704
	ds_store_b128 v32, v[8:11] offset:128
	ds_store_b128 v32, v[12:15] offset:192
	ds_store_b128 v32, v[16:19] offset:256
	ds_store_b128 v32, v[20:23] offset:320
	ds_store_b128 v32, v[4:7] offset:384
	ds_store_b128 v32, v[0:3] offset:448
	ds_store_b128 v32, v[24:27] offset:64
	ds_store_b128 v32, v[28:31]
	scratch_load_b128 v[0:3], off, off offset:116 ; 16-byte Folded Reload
	s_waitcnt vmcnt(0)
	ds_store_b128 v32, v[0:3] offset:768
.LBB0_15:
	s_or_b32 exec_lo, exec_lo, s1
	v_mad_u64_u32 v[4:5], null, 0x60, v100, s[2:3]
	s_waitcnt lgkmcnt(0)
	s_waitcnt_vscnt null, 0x0
	s_barrier
	buffer_gl0_inv
	s_mov_b32 s20, 0xe976ee23
	s_mov_b32 s21, 0xbfe11646
	;; [unrolled: 1-line block ×3, first 2 shown]
	s_clause 0x3
	global_load_b128 v[52:55], v[4:5], off offset:800
	global_load_b128 v[56:59], v[4:5], off offset:816
	;; [unrolled: 1-line block ×4, first 2 shown]
	ds_load_b128 v[0:3], v88 offset:2496
	ds_load_b128 v[6:9], v88 offset:1664
	;; [unrolled: 1-line block ×6, first 2 shown]
	s_mov_b32 s16, 0xaaaaaaaa
	s_mov_b32 s15, 0x3febfeb5
	;; [unrolled: 1-line block ×17, first 2 shown]
	s_waitcnt vmcnt(3) lgkmcnt(5)
	v_mul_f64 v[26:27], v[2:3], v[54:55]
	v_mul_f64 v[28:29], v[0:1], v[54:55]
	s_waitcnt vmcnt(2) lgkmcnt(3)
	v_mul_f64 v[30:31], v[12:13], v[58:59]
	v_mul_f64 v[32:33], v[10:11], v[58:59]
	;; [unrolled: 3-line block ×3, first 2 shown]
	v_fma_f64 v[38:39], v[0:1], v[52:53], -v[26:27]
	v_fma_f64 v[40:41], v[2:3], v[52:53], v[28:29]
	ds_load_b128 v[0:3], v88 offset:12480
	v_fma_f64 v[42:43], v[10:11], v[56:57], -v[30:31]
	v_fma_f64 v[44:45], v[12:13], v[56:57], v[32:33]
	ds_load_b128 v[10:13], v88 offset:11648
	v_fma_f64 v[34:35], v[14:15], v[64:65], -v[34:35]
	v_fma_f64 v[36:37], v[16:17], v[64:65], v[36:37]
	s_waitcnt vmcnt(0) lgkmcnt(1)
	v_mul_f64 v[26:27], v[2:3], v[62:63]
	v_mul_f64 v[14:15], v[0:1], v[62:63]
	s_delay_alu instid0(VALU_DEP_2) | instskip(NEXT) | instid1(VALU_DEP_2)
	v_fma_f64 v[46:47], v[0:1], v[60:61], -v[26:27]
	v_fma_f64 v[48:49], v[2:3], v[60:61], v[14:15]
	ds_load_b128 v[0:3], v88 offset:3328
	ds_load_b128 v[14:17], v88 offset:4160
	s_clause 0x1
	scratch_store_b128 off, v[52:55], off offset:608
	scratch_store_b128 off, v[56:59], off offset:592
	s_waitcnt lgkmcnt(1)
	v_mul_f64 v[26:27], v[2:3], v[54:55]
	s_delay_alu instid0(VALU_DEP_1) | instskip(SKIP_1) | instid1(VALU_DEP_1)
	v_fma_f64 v[50:51], v[0:1], v[52:53], -v[26:27]
	v_mul_f64 v[0:1], v[0:1], v[54:55]
	v_fma_f64 v[52:53], v[2:3], v[52:53], v[0:1]
	v_mul_f64 v[0:1], v[20:21], v[58:59]
	s_delay_alu instid0(VALU_DEP_1) | instskip(SKIP_1) | instid1(VALU_DEP_1)
	v_fma_f64 v[54:55], v[18:19], v[56:57], -v[0:1]
	v_mul_f64 v[0:1], v[18:19], v[58:59]
	v_fma_f64 v[56:57], v[20:21], v[56:57], v[0:1]
	ds_load_b128 v[0:3], v88 offset:13312
	ds_load_b128 v[18:21], v88 offset:14144
	s_clause 0x1
	scratch_store_b128 off, v[60:63], off offset:576
	scratch_store_b128 off, v[64:67], off offset:560
	s_clause 0x1
	global_load_b128 v[200:203], v[4:5], off offset:832
	global_load_b128 v[196:199], v[4:5], off offset:848
	s_waitcnt lgkmcnt(1)
	v_mul_f64 v[26:27], v[2:3], v[62:63]
	s_delay_alu instid0(VALU_DEP_1) | instskip(SKIP_1) | instid1(VALU_DEP_2)
	v_fma_f64 v[58:59], v[0:1], v[60:61], -v[26:27]
	v_mul_f64 v[0:1], v[0:1], v[62:63]
	v_add_f64 v[162:163], v[54:55], v[58:59]
	s_delay_alu instid0(VALU_DEP_2) | instskip(SKIP_1) | instid1(VALU_DEP_2)
	v_fma_f64 v[60:61], v[2:3], v[60:61], v[0:1]
	v_mul_f64 v[0:1], v[24:25], v[66:67]
	v_add_f64 v[174:175], v[56:57], v[60:61]
	s_delay_alu instid0(VALU_DEP_2) | instskip(SKIP_1) | instid1(VALU_DEP_2)
	v_fma_f64 v[62:63], v[22:23], v[64:65], -v[0:1]
	v_mul_f64 v[0:1], v[22:23], v[66:67]
	v_add_f64 v[160:161], v[50:51], v[62:63]
	s_delay_alu instid0(VALU_DEP_2)
	v_fma_f64 v[64:65], v[24:25], v[64:65], v[0:1]
	ds_load_b128 v[0:3], v88 offset:7488
	ds_load_b128 v[22:25], v88 offset:6656
	v_add_f64 v[172:173], v[52:53], v[64:65]
	v_add_f64 v[52:53], v[52:53], -v[64:65]
	s_waitcnt vmcnt(1) lgkmcnt(1)
	v_mul_f64 v[4:5], v[2:3], v[202:203]
	s_delay_alu instid0(VALU_DEP_1) | instskip(SKIP_1) | instid1(VALU_DEP_1)
	v_fma_f64 v[66:67], v[0:1], v[200:201], -v[4:5]
	v_mul_f64 v[0:1], v[0:1], v[202:203]
	v_fma_f64 v[68:69], v[2:3], v[200:201], v[0:1]
	ds_load_b128 v[0:3], v88 offset:9984
	ds_load_b128 v[26:29], v88 offset:10816
	s_waitcnt vmcnt(0) lgkmcnt(1)
	v_mul_f64 v[4:5], v[2:3], v[198:199]
	s_delay_alu instid0(VALU_DEP_1) | instskip(SKIP_1) | instid1(VALU_DEP_1)
	v_fma_f64 v[70:71], v[0:1], v[196:197], -v[4:5]
	v_mul_f64 v[0:1], v[0:1], v[198:199]
	v_fma_f64 v[72:73], v[2:3], v[196:197], v[0:1]
	ds_load_b128 v[0:3], v88 offset:8320
	ds_load_b128 v[30:33], v88 offset:9152
	s_waitcnt lgkmcnt(1)
	v_mul_f64 v[4:5], v[2:3], v[202:203]
	s_delay_alu instid0(VALU_DEP_1) | instskip(SKIP_1) | instid1(VALU_DEP_1)
	v_fma_f64 v[74:75], v[0:1], v[200:201], -v[4:5]
	v_mul_f64 v[0:1], v[0:1], v[202:203]
	v_fma_f64 v[76:77], v[2:3], v[200:201], v[0:1]
	v_mul_f64 v[0:1], v[28:29], v[198:199]
	s_delay_alu instid0(VALU_DEP_1) | instskip(SKIP_1) | instid1(VALU_DEP_2)
	v_fma_f64 v[78:79], v[26:27], v[196:197], -v[0:1]
	v_mul_f64 v[0:1], v[26:27], v[198:199]
	v_add_f64 v[168:169], v[74:75], v[78:79]
	s_delay_alu instid0(VALU_DEP_2) | instskip(SKIP_4) | instid1(VALU_DEP_1)
	v_fma_f64 v[80:81], v[28:29], v[196:197], v[0:1]
	scratch_load_b32 v1, off, off offset:4  ; 4-byte Folded Reload
	v_add_f64 v[176:177], v[76:77], v[80:81]
	s_waitcnt vmcnt(0)
	v_and_b32_e32 v0, 0xff, v1
	v_mul_lo_u16 v0, 0x4f, v0
	s_delay_alu instid0(VALU_DEP_1) | instskip(NEXT) | instid1(VALU_DEP_1)
	v_lshrrev_b16 v0, 12, v0
	v_mul_lo_u16 v0, v0, 52
	s_delay_alu instid0(VALU_DEP_1) | instskip(NEXT) | instid1(VALU_DEP_1)
	v_sub_nc_u16 v0, v1, v0
	v_and_b32_e32 v89, 0xff, v0
	s_delay_alu instid0(VALU_DEP_1)
	v_mad_u64_u32 v[4:5], null, 0x60, v89, s[2:3]
	s_clause 0x1
	global_load_b128 v[84:87], v[4:5], off offset:800
	global_load_b128 v[26:29], v[4:5], off offset:816
	s_waitcnt vmcnt(1)
	v_mul_f64 v[0:1], v[16:17], v[86:87]
	scratch_store_b128 off, v[84:87], off offset:876 ; 16-byte Folded Spill
	s_waitcnt vmcnt(0)
	scratch_store_b128 off, v[26:29], off offset:844 ; 16-byte Folded Spill
	v_fma_f64 v[82:83], v[14:15], v[84:85], -v[0:1]
	v_mul_f64 v[0:1], v[14:15], v[86:87]
	s_delay_alu instid0(VALU_DEP_1) | instskip(SKIP_1) | instid1(VALU_DEP_1)
	v_fma_f64 v[84:85], v[16:17], v[84:85], v[0:1]
	v_mul_f64 v[0:1], v[24:25], v[28:29]
	v_fma_f64 v[86:87], v[22:23], v[26:27], -v[0:1]
	v_mul_f64 v[0:1], v[22:23], v[28:29]
	s_delay_alu instid0(VALU_DEP_1)
	v_fma_f64 v[90:91], v[24:25], v[26:27], v[0:1]
	s_clause 0x1
	global_load_b128 v[22:25], v[4:5], off offset:880
	global_load_b128 v[26:29], v[4:5], off offset:864
	ds_load_b128 v[0:3], v88 offset:16640
	s_waitcnt vmcnt(1) lgkmcnt(0)
	v_mul_f64 v[14:15], v[2:3], v[24:25]
	scratch_store_b128 off, v[22:25], off offset:796 ; 16-byte Folded Spill
	s_waitcnt vmcnt(0)
	scratch_store_b128 off, v[26:29], off offset:812 ; 16-byte Folded Spill
	v_fma_f64 v[92:93], v[0:1], v[22:23], -v[14:15]
	v_mul_f64 v[0:1], v[0:1], v[24:25]
	v_add_f64 v[24:25], v[66:67], v[70:71]
	s_delay_alu instid0(VALU_DEP_3) | instskip(NEXT) | instid1(VALU_DEP_3)
	v_add_f64 v[184:185], v[82:83], v[92:93]
	v_fma_f64 v[94:95], v[2:3], v[22:23], v[0:1]
	s_clause 0x1
	global_load_b128 v[14:17], v[4:5], off offset:832
	global_load_b128 v[2:5], v[4:5], off offset:848
	v_mul_f64 v[0:1], v[20:21], v[28:29]
	v_add_f64 v[22:23], v[38:39], v[34:35]
	v_add_f64 v[34:35], v[38:39], -v[34:35]
	v_add_f64 v[38:39], v[72:73], -v[68:69]
	v_add_f64 v[204:205], v[84:85], v[94:95]
	v_fma_f64 v[96:97], v[18:19], v[26:27], -v[0:1]
	v_mul_f64 v[0:1], v[18:19], v[28:29]
	v_add_f64 v[18:19], v[44:45], v[48:49]
	v_add_f64 v[28:29], v[68:69], v[72:73]
	s_delay_alu instid0(VALU_DEP_4) | instskip(NEXT) | instid1(VALU_DEP_4)
	v_add_f64 v[186:187], v[86:87], v[96:97]
	v_fma_f64 v[98:99], v[20:21], v[26:27], v[0:1]
	v_add_f64 v[26:27], v[40:41], v[36:37]
	v_add_f64 v[36:37], v[40:41], -v[36:37]
	s_delay_alu instid0(VALU_DEP_3)
	v_add_f64 v[206:207], v[90:91], v[98:99]
	s_waitcnt vmcnt(1)
	v_mul_f64 v[0:1], v[32:33], v[16:17]
	scratch_store_b128 off, v[14:17], off offset:860 ; 16-byte Folded Spill
	s_waitcnt vmcnt(0)
	scratch_store_b128 off, v[2:5], off offset:828 ; 16-byte Folded Spill
	v_fma_f64 v[128:129], v[30:31], v[14:15], -v[0:1]
	v_mul_f64 v[0:1], v[30:31], v[16:17]
	v_add_f64 v[30:31], v[70:71], -v[66:67]
	s_delay_alu instid0(VALU_DEP_2) | instskip(SKIP_4) | instid1(VALU_DEP_4)
	v_fma_f64 v[130:131], v[32:33], v[14:15], v[0:1]
	v_mul_f64 v[0:1], v[12:13], v[4:5]
	v_add_f64 v[14:15], v[42:43], v[46:47]
	v_add_f64 v[32:33], v[44:45], -v[48:49]
	v_add_f64 v[44:45], v[18:19], -v[26:27]
	v_fma_f64 v[156:157], v[10:11], v[2:3], -v[0:1]
	v_mul_f64 v[0:1], v[10:11], v[4:5]
	v_add_f64 v[4:5], v[162:163], v[160:161]
	v_add_f64 v[40:41], v[14:15], -v[22:23]
	v_add_f64 v[48:49], v[38:39], -v[32:33]
	v_add_f64 v[66:67], v[38:39], v[32:33]
	v_add_f64 v[32:33], v[32:33], -v[36:37]
	v_add_f64 v[188:189], v[128:129], v[156:157]
	v_fma_f64 v[158:159], v[12:13], v[2:3], v[0:1]
	v_add_f64 v[170:171], v[168:169], v[4:5]
	v_add_f64 v[4:5], v[174:175], v[172:173]
	;; [unrolled: 1-line block ×3, first 2 shown]
	v_mul_f64 v[48:49], v[48:49], s[20:21]
	v_add_f64 v[22:23], v[22:23], -v[24:25]
	v_add_f64 v[66:67], v[66:67], v[36:37]
	v_add_f64 v[208:209], v[130:131], v[158:159]
	;; [unrolled: 1-line block ×6, first 2 shown]
	s_delay_alu instid0(VALU_DEP_3) | instskip(SKIP_1) | instid1(VALU_DEP_3)
	v_add_f64 v[190:191], v[188:189], v[4:5]
	v_add_f64 v[4:5], v[206:207], v[204:205]
	;; [unrolled: 1-line block ×3, first 2 shown]
	ds_load_b128 v[0:3], v88
	ds_load_b128 v[10:13], v88 offset:832
	s_waitcnt lgkmcnt(0)
	s_waitcnt_vscnt null, 0x0
	s_barrier
	buffer_gl0_inv
	v_add_f64 v[0:1], v[0:1], v[16:17]
	v_add_f64 v[10:11], v[10:11], v[170:171]
	;; [unrolled: 1-line block ×6, first 2 shown]
	v_fma_f64 v[72:73], v[16:17], s[16:17], v[0:1]
	s_delay_alu instid0(VALU_DEP_4)
	v_add_f64 v[6:7], v[8:9], v[210:211]
	v_add_f64 v[8:9], v[42:43], -v[46:47]
	v_add_f64 v[46:47], v[28:29], -v[18:19]
	;; [unrolled: 1-line block ×4, first 2 shown]
	v_fma_f64 v[212:213], v[20:21], s[16:17], v[2:3]
	v_mul_f64 v[26:27], v[32:33], s[14:15]
	v_add_f64 v[18:19], v[30:31], -v[8:9]
	v_add_f64 v[14:15], v[30:31], v[8:9]
	v_add_f64 v[8:9], v[8:9], -v[34:35]
	v_add_f64 v[30:31], v[34:35], -v[30:31]
	s_delay_alu instid0(VALU_DEP_4) | instskip(NEXT) | instid1(VALU_DEP_4)
	v_mul_f64 v[68:69], v[18:19], s[20:21]
	v_add_f64 v[70:71], v[14:15], v[34:35]
	v_add_f64 v[34:35], v[36:37], -v[38:39]
	v_mul_f64 v[36:37], v[24:25], s[24:25]
	v_mul_f64 v[14:15], v[42:43], s[10:11]
	;; [unrolled: 1-line block ×3, first 2 shown]
	v_fma_f64 v[16:17], v[8:9], s[14:15], -v[68:69]
	v_mul_f64 v[8:9], v[8:9], s[14:15]
	s_delay_alu instid0(VALU_DEP_4) | instskip(NEXT) | instid1(VALU_DEP_4)
	v_fma_f64 v[14:15], v[40:41], s[18:19], -v[14:15]
	v_fma_f64 v[18:19], v[44:45], s[18:19], -v[18:19]
	s_delay_alu instid0(VALU_DEP_4)
	v_fma_f64 v[20:21], v[70:71], s[12:13], v[16:17]
	v_fma_f64 v[16:17], v[32:33], s[14:15], -v[48:49]
	v_mul_f64 v[32:33], v[22:23], s[24:25]
	v_fma_f64 v[8:9], v[30:31], s[28:29], -v[8:9]
	v_fma_f64 v[22:23], v[34:35], s[28:29], -v[26:27]
	;; [unrolled: 1-line block ×3, first 2 shown]
	v_add_f64 v[216:217], v[14:15], v[72:73]
	v_add_f64 v[218:219], v[18:19], v[212:213]
	v_fma_f64 v[214:215], v[66:67], s[12:13], v[16:17]
	v_fma_f64 v[24:25], v[40:41], s[26:27], -v[32:33]
	v_fma_f64 v[8:9], v[70:71], s[12:13], v[8:9]
	v_fma_f64 v[28:29], v[66:67], s[12:13], v[22:23]
	v_add_f64 v[40:41], v[26:27], v[212:213]
	v_fma_f64 v[32:33], v[42:43], s[10:11], v[32:33]
	v_add_f64 v[16:17], v[20:21], v[218:219]
	v_add_f64 v[20:21], v[218:219], -v[20:21]
	v_add_f64 v[14:15], v[216:217], -v[214:215]
	v_add_f64 v[38:39], v[24:25], v[72:73]
	v_add_f64 v[18:19], v[214:215], v[216:217]
	v_add_f64 v[24:25], v[40:41], -v[8:9]
	s_delay_alu instid0(VALU_DEP_3)
	v_add_f64 v[22:23], v[28:29], v[38:39]
	v_add_f64 v[26:27], v[38:39], -v[28:29]
	v_add_f64 v[28:29], v[8:9], v[40:41]
	v_fma_f64 v[8:9], v[30:31], s[22:23], v[68:69]
	v_fma_f64 v[30:31], v[34:35], s[22:23], v[48:49]
	;; [unrolled: 1-line block ×3, first 2 shown]
	v_add_f64 v[38:39], v[32:33], v[72:73]
	v_add_f64 v[46:47], v[78:79], -v[74:75]
	v_add_f64 v[48:49], v[50:51], -v[62:63]
	;; [unrolled: 1-line block ×3, first 2 shown]
	v_fma_f64 v[72:73], v[170:171], s[16:17], v[10:11]
	v_fma_f64 v[74:75], v[178:179], s[16:17], v[12:13]
	;; [unrolled: 1-line block ×4, first 2 shown]
	v_add_f64 v[40:41], v[34:35], v[212:213]
	v_add_f64 v[80:81], v[48:49], -v[46:47]
	s_delay_alu instid0(VALU_DEP_3) | instskip(NEXT) | instid1(VALU_DEP_3)
	v_add_f64 v[30:31], v[36:37], v[38:39]
	v_add_f64 v[32:33], v[40:41], -v[8:9]
	v_add_f64 v[34:35], v[38:39], -v[36:37]
	v_add_f64 v[36:37], v[8:9], v[40:41]
	v_add_f64 v[8:9], v[54:55], -v[58:59]
	v_add_f64 v[38:39], v[56:57], -v[60:61]
	;; [unrolled: 1-line block ×7, first 2 shown]
	v_add_f64 v[40:41], v[46:47], v[8:9]
	v_add_f64 v[8:9], v[8:9], -v[48:49]
	v_add_f64 v[62:63], v[50:51], -v[38:39]
	v_add_f64 v[44:45], v[50:51], v[38:39]
	v_add_f64 v[64:65], v[38:39], -v[52:53]
	v_mul_f64 v[38:39], v[56:57], s[10:11]
	v_mul_f64 v[70:71], v[42:43], s[20:21]
	v_add_f64 v[66:67], v[40:41], v[48:49]
	v_mul_f64 v[40:41], v[60:61], s[10:11]
	v_mul_f64 v[62:63], v[62:63], s[20:21]
	v_add_f64 v[68:69], v[44:45], v[52:53]
	v_mul_f64 v[46:47], v[64:65], s[14:15]
	v_fma_f64 v[38:39], v[54:55], s[18:19], -v[38:39]
	v_fma_f64 v[42:43], v[8:9], s[14:15], -v[70:71]
	v_mul_f64 v[8:9], v[8:9], s[14:15]
	v_fma_f64 v[40:41], v[58:59], s[18:19], -v[40:41]
	s_delay_alu instid0(VALU_DEP_4) | instskip(NEXT) | instid1(VALU_DEP_4)
	v_add_f64 v[76:77], v[38:39], v[72:73]
	v_fma_f64 v[44:45], v[66:67], s[12:13], v[42:43]
	v_fma_f64 v[42:43], v[64:65], s[14:15], -v[62:63]
	s_delay_alu instid0(VALU_DEP_4) | instskip(SKIP_1) | instid1(VALU_DEP_3)
	v_add_f64 v[78:79], v[40:41], v[74:75]
	v_fma_f64 v[8:9], v[80:81], s[28:29], -v[8:9]
	v_fma_f64 v[42:43], v[68:69], s[12:13], v[42:43]
	s_delay_alu instid0(VALU_DEP_3)
	v_add_f64 v[40:41], v[44:45], v[78:79]
	v_add_f64 v[44:45], v[78:79], -v[44:45]
	v_add_f64 v[78:79], v[172:173], -v[176:177]
	v_fma_f64 v[8:9], v[66:67], s[12:13], v[8:9]
	v_add_f64 v[38:39], v[76:77], -v[42:43]
	v_add_f64 v[42:43], v[42:43], v[76:77]
	v_add_f64 v[76:77], v[160:161], -v[168:169]
	v_add_f64 v[160:161], v[52:53], -v[50:51]
	s_delay_alu instid0(VALU_DEP_2) | instskip(SKIP_1) | instid1(VALU_DEP_3)
	v_mul_f64 v[64:65], v[76:77], s[24:25]
	v_mul_f64 v[76:77], v[78:79], s[24:25]
	v_fma_f64 v[46:47], v[160:161], s[28:29], -v[46:47]
	v_add_f64 v[78:79], v[186:187], -v[184:185]
	s_delay_alu instid0(VALU_DEP_4) | instskip(NEXT) | instid1(VALU_DEP_4)
	v_fma_f64 v[48:49], v[54:55], s[26:27], -v[64:65]
	v_fma_f64 v[50:51], v[58:59], s[26:27], -v[76:77]
	s_delay_alu instid0(VALU_DEP_4) | instskip(SKIP_1) | instid1(VALU_DEP_4)
	v_fma_f64 v[52:53], v[68:69], s[12:13], v[46:47]
	v_fma_f64 v[56:57], v[56:57], s[10:11], v[64:65]
	v_add_f64 v[54:55], v[48:49], v[72:73]
	s_delay_alu instid0(VALU_DEP_4) | instskip(NEXT) | instid1(VALU_DEP_2)
	v_add_f64 v[58:59], v[50:51], v[74:75]
	v_add_f64 v[46:47], v[52:53], v[54:55]
	s_delay_alu instid0(VALU_DEP_2)
	v_add_f64 v[48:49], v[58:59], -v[8:9]
	v_add_f64 v[50:51], v[54:55], -v[52:53]
	v_add_f64 v[52:53], v[8:9], v[58:59]
	v_fma_f64 v[8:9], v[80:81], s[22:23], v[70:71]
	v_fma_f64 v[54:55], v[160:161], s[22:23], v[62:63]
	;; [unrolled: 1-line block ×3, first 2 shown]
	v_add_f64 v[62:63], v[56:57], v[72:73]
	v_add_f64 v[70:71], v[156:157], -v[128:129]
	v_add_f64 v[72:73], v[82:83], -v[92:93]
	;; [unrolled: 1-line block ×6, first 2 shown]
	v_fma_f64 v[128:129], v[210:211], s[16:17], v[6:7]
	v_fma_f64 v[8:9], v[66:67], s[12:13], v[8:9]
	;; [unrolled: 1-line block ×3, first 2 shown]
	v_add_f64 v[64:65], v[58:59], v[74:75]
	v_add_f64 v[74:75], v[158:159], -v[130:131]
	v_add_f64 v[158:159], v[72:73], -v[70:71]
	s_delay_alu instid0(VALU_DEP_4) | instskip(NEXT) | instid1(VALU_DEP_4)
	v_add_f64 v[54:55], v[60:61], v[62:63]
	v_add_f64 v[56:57], v[64:65], -v[8:9]
	v_add_f64 v[58:59], v[62:63], -v[60:61]
	v_add_f64 v[60:61], v[8:9], v[64:65]
	v_add_f64 v[8:9], v[86:87], -v[96:97]
	v_add_f64 v[62:63], v[90:91], -v[98:99]
	v_fma_f64 v[98:99], v[190:191], s[16:17], v[4:5]
	v_add_f64 v[160:161], v[76:77], -v[74:75]
	ds_store_b128 v88, v[0:3]
	ds_store_b128 v88, v[30:33] offset:832
	ds_store_b128 v88, v[22:25] offset:1664
	;; [unrolled: 1-line block ×13, first 2 shown]
	v_add_f64 v[66:67], v[70:71], -v[8:9]
	v_add_f64 v[64:65], v[70:71], v[8:9]
	v_add_f64 v[8:9], v[8:9], -v[72:73]
	v_add_f64 v[86:87], v[74:75], -v[62:63]
	v_add_f64 v[68:69], v[74:75], v[62:63]
	v_add_f64 v[90:91], v[62:63], -v[76:77]
	v_mul_f64 v[62:63], v[80:81], s[10:11]
	v_mul_f64 v[96:97], v[66:67], s[20:21]
	v_add_f64 v[92:93], v[64:65], v[72:73]
	v_mul_f64 v[64:65], v[84:85], s[10:11]
	v_mul_f64 v[86:87], v[86:87], s[20:21]
	v_add_f64 v[94:95], v[68:69], v[76:77]
	v_mul_f64 v[70:71], v[90:91], s[14:15]
	v_fma_f64 v[62:63], v[78:79], s[18:19], -v[62:63]
	v_fma_f64 v[66:67], v[8:9], s[14:15], -v[96:97]
	v_mul_f64 v[8:9], v[8:9], s[14:15]
	v_fma_f64 v[64:65], v[82:83], s[18:19], -v[64:65]
	v_fma_f64 v[70:71], v[160:161], s[28:29], -v[70:71]
	v_add_f64 v[130:131], v[62:63], v[98:99]
	v_fma_f64 v[68:69], v[92:93], s[12:13], v[66:67]
	v_fma_f64 v[66:67], v[90:91], s[14:15], -v[86:87]
	v_add_f64 v[156:157], v[64:65], v[128:129]
	v_fma_f64 v[8:9], v[158:159], s[28:29], -v[8:9]
	v_fma_f64 v[76:77], v[94:95], s[12:13], v[70:71]
	s_delay_alu instid0(VALU_DEP_4) | instskip(NEXT) | instid1(VALU_DEP_4)
	v_fma_f64 v[66:67], v[94:95], s[12:13], v[66:67]
	v_add_f64 v[64:65], v[68:69], v[156:157]
	v_add_f64 v[68:69], v[156:157], -v[68:69]
	v_add_f64 v[156:157], v[204:205], -v[208:209]
	v_fma_f64 v[8:9], v[92:93], s[12:13], v[8:9]
	v_add_f64 v[62:63], v[130:131], -v[66:67]
	v_add_f64 v[66:67], v[66:67], v[130:131]
	v_add_f64 v[130:131], v[184:185], -v[188:189]
	s_delay_alu instid0(VALU_DEP_1) | instskip(SKIP_1) | instid1(VALU_DEP_2)
	v_mul_f64 v[90:91], v[130:131], s[24:25]
	v_mul_f64 v[130:131], v[156:157], s[24:25]
	v_fma_f64 v[72:73], v[78:79], s[26:27], -v[90:91]
	s_delay_alu instid0(VALU_DEP_2) | instskip(SKIP_1) | instid1(VALU_DEP_3)
	v_fma_f64 v[74:75], v[82:83], s[26:27], -v[130:131]
	v_fma_f64 v[80:81], v[80:81], s[10:11], v[90:91]
	v_add_f64 v[78:79], v[72:73], v[98:99]
	s_delay_alu instid0(VALU_DEP_3) | instskip(NEXT) | instid1(VALU_DEP_2)
	v_add_f64 v[82:83], v[74:75], v[128:129]
	v_add_f64 v[70:71], v[76:77], v[78:79]
	s_delay_alu instid0(VALU_DEP_2)
	v_add_f64 v[72:73], v[82:83], -v[8:9]
	v_add_f64 v[74:75], v[78:79], -v[76:77]
	v_add_f64 v[76:77], v[8:9], v[82:83]
	v_fma_f64 v[8:9], v[158:159], s[22:23], v[96:97]
	v_fma_f64 v[78:79], v[160:161], s[22:23], v[86:87]
	;; [unrolled: 1-line block ×3, first 2 shown]
	v_add_f64 v[86:87], v[80:81], v[98:99]
	s_mov_b32 s11, 0xbfebb67a
	s_delay_alu instid0(VALU_DEP_4) | instskip(NEXT) | instid1(VALU_DEP_4)
	v_fma_f64 v[8:9], v[92:93], s[12:13], v[8:9]
	v_fma_f64 v[84:85], v[94:95], s[12:13], v[78:79]
	s_delay_alu instid0(VALU_DEP_4) | instskip(NEXT) | instid1(VALU_DEP_2)
	v_add_f64 v[90:91], v[82:83], v[128:129]
	v_add_f64 v[78:79], v[84:85], v[86:87]
	s_delay_alu instid0(VALU_DEP_2)
	v_add_f64 v[80:81], v[90:91], -v[8:9]
	v_add_f64 v[82:83], v[86:87], -v[84:85]
	v_add_f64 v[84:85], v[8:9], v[90:91]
	v_lshlrev_b32_e32 v8, 4, v89
	ds_store_b128 v8, v[4:7] offset:11648
	ds_store_b128 v8, v[78:81] offset:12480
	;; [unrolled: 1-line block ×6, first 2 shown]
	scratch_load_b32 v0, off, off offset:644 ; 4-byte Folded Reload
	scratch_store_b32 off, v8, off offset:780 ; 4-byte Folded Spill
	ds_store_b128 v8, v[82:85] offset:16640
	s_waitcnt vmcnt(0) lgkmcnt(0)
	s_waitcnt_vscnt null, 0x0
	s_barrier
	buffer_gl0_inv
	v_add_co_u32 v2, s1, s2, v0
	s_delay_alu instid0(VALU_DEP_1) | instskip(NEXT) | instid1(VALU_DEP_2)
	v_add_co_ci_u32_e64 v3, null, s3, 0, s1
	v_add_co_u32 v0, s1, 0x1000, v2
	s_delay_alu instid0(VALU_DEP_1) | instskip(SKIP_2) | instid1(VALU_DEP_1)
	v_add_co_ci_u32_e64 v1, s1, 0, v3, s1
	global_load_b128 v[10:13], v[0:1], off offset:1696
	v_add_co_u32 v0, s1, 0x16a0, v2
	v_add_co_ci_u32_e64 v1, s1, 0, v3, s1
	global_load_b128 v[22:25], v[0:1], off offset:16
	ds_load_b128 v[0:3], v88 offset:5824
	ds_load_b128 v[4:7], v88 offset:4992
	s_waitcnt vmcnt(1) lgkmcnt(1)
	v_mul_f64 v[8:9], v[2:3], v[12:13]
	scratch_store_b128 off, v[10:13], off offset:4 ; 16-byte Folded Spill
	v_fma_f64 v[16:17], v[0:1], v[10:11], -v[8:9]
	v_mul_f64 v[0:1], v[0:1], v[12:13]
	s_delay_alu instid0(VALU_DEP_1)
	v_fma_f64 v[18:19], v[2:3], v[10:11], v[0:1]
	ds_load_b128 v[0:3], v88 offset:11648
	ds_load_b128 v[8:11], v88 offset:12480
	s_waitcnt vmcnt(0)
	scratch_store_b128 off, v[22:25], off offset:644 ; 16-byte Folded Spill
	s_waitcnt lgkmcnt(1)
	v_mul_f64 v[12:13], v[2:3], v[24:25]
	s_delay_alu instid0(VALU_DEP_1) | instskip(SKIP_1) | instid1(VALU_DEP_1)
	v_fma_f64 v[20:21], v[0:1], v[22:23], -v[12:13]
	v_mul_f64 v[0:1], v[0:1], v[24:25]
	v_fma_f64 v[22:23], v[2:3], v[22:23], v[0:1]
	scratch_load_b32 v0, off, off offset:892 ; 4-byte Folded Reload
	s_waitcnt vmcnt(0)
	v_lshlrev_b32_e32 v0, 4, v0
	s_delay_alu instid0(VALU_DEP_1) | instskip(NEXT) | instid1(VALU_DEP_1)
	v_add_co_u32 v2, s1, s2, v0
	v_add_co_ci_u32_e64 v3, null, s3, 0, s1
	s_delay_alu instid0(VALU_DEP_2) | instskip(NEXT) | instid1(VALU_DEP_1)
	v_add_co_u32 v0, s1, 0x1000, v2
	v_add_co_ci_u32_e64 v1, s1, 0, v3, s1
	v_add_co_u32 v2, s1, 0x16a0, v2
	s_delay_alu instid0(VALU_DEP_1)
	v_add_co_ci_u32_e64 v3, s1, 0, v3, s1
	s_clause 0x1
	global_load_b128 v[26:29], v[0:1], off offset:1696
	global_load_b128 v[30:33], v[2:3], off offset:16
	ds_load_b128 v[0:3], v88 offset:6656
	ds_load_b128 v[12:15], v88 offset:7488
	s_waitcnt vmcnt(1) lgkmcnt(1)
	v_mul_f64 v[24:25], v[2:3], v[28:29]
	scratch_store_b128 off, v[26:29], off offset:892 ; 16-byte Folded Spill
	s_waitcnt vmcnt(0)
	scratch_store_b128 off, v[30:33], off offset:908 ; 16-byte Folded Spill
	v_fma_f64 v[24:25], v[0:1], v[26:27], -v[24:25]
	v_mul_f64 v[0:1], v[0:1], v[28:29]
	s_delay_alu instid0(VALU_DEP_1) | instskip(SKIP_1) | instid1(VALU_DEP_1)
	v_fma_f64 v[26:27], v[2:3], v[26:27], v[0:1]
	v_mul_f64 v[0:1], v[10:11], v[32:33]
	v_fma_f64 v[28:29], v[8:9], v[30:31], -v[0:1]
	v_mul_f64 v[0:1], v[8:9], v[32:33]
	s_delay_alu instid0(VALU_DEP_1) | instskip(SKIP_3) | instid1(VALU_DEP_1)
	v_fma_f64 v[30:31], v[10:11], v[30:31], v[0:1]
	scratch_load_b32 v0, off, off offset:924 ; 4-byte Folded Reload
	s_waitcnt vmcnt(0)
	v_lshlrev_b32_e32 v0, 4, v0
	v_add_co_u32 v2, s1, s2, v0
	s_delay_alu instid0(VALU_DEP_1) | instskip(NEXT) | instid1(VALU_DEP_2)
	v_add_co_ci_u32_e64 v3, null, s3, 0, s1
	v_add_co_u32 v0, s1, 0x1000, v2
	s_delay_alu instid0(VALU_DEP_1) | instskip(SKIP_1) | instid1(VALU_DEP_1)
	v_add_co_ci_u32_e64 v1, s1, 0, v3, s1
	v_add_co_u32 v2, s1, 0x16a0, v2
	v_add_co_ci_u32_e64 v3, s1, 0, v3, s1
	s_clause 0x1
	global_load_b128 v[8:11], v[0:1], off offset:1696
	global_load_b128 v[32:35], v[2:3], off offset:16
	s_waitcnt vmcnt(1) lgkmcnt(0)
	v_mul_f64 v[0:1], v[14:15], v[10:11]
	scratch_store_b128 off, v[8:11], off offset:924 ; 16-byte Folded Spill
	v_fma_f64 v[40:41], v[12:13], v[8:9], -v[0:1]
	v_mul_f64 v[0:1], v[12:13], v[10:11]
	s_delay_alu instid0(VALU_DEP_1)
	v_fma_f64 v[36:37], v[14:15], v[8:9], v[0:1]
	ds_load_b128 v[0:3], v88 offset:13312
	ds_load_b128 v[8:11], v88 offset:14144
	scratch_load_b32 v98, off, off offset:676 ; 4-byte Folded Reload
	s_waitcnt vmcnt(1)
	scratch_store_b128 off, v[32:35], off offset:940 ; 16-byte Folded Spill
	s_waitcnt lgkmcnt(1)
	v_mul_f64 v[12:13], v[2:3], v[34:35]
	s_delay_alu instid0(VALU_DEP_1) | instskip(SKIP_1) | instid1(VALU_DEP_1)
	v_fma_f64 v[42:43], v[0:1], v[32:33], -v[12:13]
	v_mul_f64 v[0:1], v[0:1], v[34:35]
	v_fma_f64 v[38:39], v[2:3], v[32:33], v[0:1]
	s_waitcnt vmcnt(0)
	v_add_co_u32 v2, s1, s2, v98
	s_delay_alu instid0(VALU_DEP_1) | instskip(NEXT) | instid1(VALU_DEP_2)
	v_add_co_ci_u32_e64 v3, null, s3, 0, s1
	v_add_co_u32 v0, s1, 0x1000, v2
	s_delay_alu instid0(VALU_DEP_1) | instskip(SKIP_1) | instid1(VALU_DEP_1)
	v_add_co_ci_u32_e64 v1, s1, 0, v3, s1
	v_add_co_u32 v2, s1, 0x16a0, v2
	v_add_co_ci_u32_e64 v3, s1, 0, v3, s1
	s_clause 0x1
	global_load_b128 v[44:47], v[0:1], off offset:1696
	global_load_b128 v[54:57], v[2:3], off offset:16
	ds_load_b128 v[0:3], v88 offset:8320
	ds_load_b128 v[12:15], v88 offset:9152
	scratch_load_b32 v89, off, off offset:660 ; 4-byte Folded Reload
	s_waitcnt vmcnt(2) lgkmcnt(1)
	v_mul_f64 v[32:33], v[2:3], v[46:47]
	scratch_store_b128 off, v[44:47], off offset:956 ; 16-byte Folded Spill
	s_waitcnt vmcnt(1)
	scratch_store_b128 off, v[54:57], off offset:972 ; 16-byte Folded Spill
	v_fma_f64 v[48:49], v[0:1], v[44:45], -v[32:33]
	v_mul_f64 v[0:1], v[0:1], v[46:47]
	s_delay_alu instid0(VALU_DEP_1) | instskip(SKIP_3) | instid1(VALU_DEP_1)
	v_fma_f64 v[50:51], v[2:3], v[44:45], v[0:1]
	v_mul_f64 v[0:1], v[10:11], v[56:57]
	s_waitcnt vmcnt(0)
	v_add_co_u32 v2, s1, s2, v89
	v_add_co_ci_u32_e64 v3, null, s3, 0, s1
	s_delay_alu instid0(VALU_DEP_3) | instskip(SKIP_1) | instid1(VALU_DEP_1)
	v_fma_f64 v[52:53], v[8:9], v[54:55], -v[0:1]
	v_mul_f64 v[0:1], v[8:9], v[56:57]
	v_fma_f64 v[54:55], v[10:11], v[54:55], v[0:1]
	v_add_co_u32 v0, s1, 0x1000, v2
	s_delay_alu instid0(VALU_DEP_1) | instskip(SKIP_1) | instid1(VALU_DEP_1)
	v_add_co_ci_u32_e64 v1, s1, 0, v3, s1
	v_add_co_u32 v2, s1, 0x16a0, v2
	v_add_co_ci_u32_e64 v3, s1, 0, v3, s1
	s_clause 0x1
	global_load_b128 v[8:11], v[0:1], off offset:1696
	global_load_b128 v[32:35], v[2:3], off offset:16
	s_waitcnt vmcnt(1) lgkmcnt(0)
	v_mul_f64 v[0:1], v[14:15], v[10:11]
	scratch_store_b128 off, v[8:11], off offset:988 ; 16-byte Folded Spill
	v_fma_f64 v[64:65], v[12:13], v[8:9], -v[0:1]
	v_mul_f64 v[0:1], v[12:13], v[10:11]
	s_delay_alu instid0(VALU_DEP_1)
	v_fma_f64 v[60:61], v[14:15], v[8:9], v[0:1]
	ds_load_b128 v[0:3], v88 offset:14976
	ds_load_b128 v[8:11], v88 offset:15808
	scratch_load_b32 v99, off, off offset:692 ; 4-byte Folded Reload
	s_waitcnt vmcnt(1)
	scratch_store_b128 off, v[32:35], off offset:1004 ; 16-byte Folded Spill
	s_waitcnt lgkmcnt(1)
	v_mul_f64 v[12:13], v[2:3], v[34:35]
	s_delay_alu instid0(VALU_DEP_1) | instskip(SKIP_1) | instid1(VALU_DEP_2)
	v_fma_f64 v[66:67], v[0:1], v[32:33], -v[12:13]
	v_mul_f64 v[0:1], v[0:1], v[34:35]
	v_add_f64 v[68:69], v[64:65], v[66:67]
	s_delay_alu instid0(VALU_DEP_2) | instskip(NEXT) | instid1(VALU_DEP_1)
	v_fma_f64 v[62:63], v[2:3], v[32:33], v[0:1]
	v_add_f64 v[70:71], v[60:61], v[62:63]
	v_add_f64 v[90:91], v[60:61], -v[62:63]
	s_waitcnt vmcnt(0)
	v_add_co_u32 v2, s1, s2, v99
	s_delay_alu instid0(VALU_DEP_1) | instskip(NEXT) | instid1(VALU_DEP_2)
	v_add_co_ci_u32_e64 v3, null, s3, 0, s1
	v_add_co_u32 v0, s1, 0x1000, v2
	s_delay_alu instid0(VALU_DEP_1) | instskip(SKIP_1) | instid1(VALU_DEP_1)
	v_add_co_ci_u32_e64 v1, s1, 0, v3, s1
	v_add_co_u32 v2, s1, 0x16a0, v2
	v_add_co_ci_u32_e64 v3, s1, 0, v3, s1
	s_clause 0x1
	global_load_b128 v[44:47], v[0:1], off offset:1696
	global_load_b128 v[56:59], v[2:3], off offset:16
	ds_load_b128 v[0:3], v88 offset:9984
	ds_load_b128 v[12:15], v88 offset:10816
	scratch_load_b32 v100, off, off offset:728 ; 4-byte Folded Reload
	s_waitcnt vmcnt(2) lgkmcnt(1)
	v_mul_f64 v[32:33], v[2:3], v[46:47]
	scratch_store_b128 off, v[44:47], off offset:1020 ; 16-byte Folded Spill
	s_waitcnt vmcnt(1)
	scratch_store_b128 off, v[56:59], off offset:1036 ; 16-byte Folded Spill
	v_fma_f64 v[72:73], v[0:1], v[44:45], -v[32:33]
	v_mul_f64 v[0:1], v[0:1], v[46:47]
	v_add_f64 v[46:47], v[36:37], v[38:39]
	s_delay_alu instid0(VALU_DEP_2) | instskip(SKIP_3) | instid1(VALU_DEP_1)
	v_fma_f64 v[74:75], v[2:3], v[44:45], v[0:1]
	v_mul_f64 v[0:1], v[10:11], v[58:59]
	s_waitcnt vmcnt(0)
	v_add_co_u32 v2, s1, s2, v100
	v_add_co_ci_u32_e64 v3, null, s3, 0, s1
	s_mov_b32 s2, 0xe8584caa
	s_mov_b32 s3, 0x3febb67a
	;; [unrolled: 1-line block ×3, first 2 shown]
	v_add_f64 v[44:45], v[40:41], v[42:43]
	s_delay_alu instid0(VALU_DEP_4) | instskip(SKIP_1) | instid1(VALU_DEP_1)
	v_fma_f64 v[76:77], v[8:9], v[56:57], -v[0:1]
	v_mul_f64 v[0:1], v[8:9], v[58:59]
	v_fma_f64 v[78:79], v[10:11], v[56:57], v[0:1]
	v_add_co_u32 v0, s1, 0x1000, v2
	s_delay_alu instid0(VALU_DEP_1) | instskip(SKIP_1) | instid1(VALU_DEP_1)
	v_add_co_ci_u32_e64 v1, s1, 0, v3, s1
	v_add_co_u32 v2, s1, 0x16a0, v2
	v_add_co_ci_u32_e64 v3, s1, 0, v3, s1
	s_clause 0x1
	global_load_b128 v[8:11], v[0:1], off offset:1696
	global_load_b128 v[32:35], v[2:3], off offset:16
	v_add_f64 v[56:57], v[36:37], -v[38:39]
	s_waitcnt vmcnt(1) lgkmcnt(0)
	v_mul_f64 v[0:1], v[14:15], v[10:11]
	scratch_store_b128 off, v[8:11], off offset:1052 ; 16-byte Folded Spill
	s_waitcnt vmcnt(0)
	scratch_store_b128 off, v[32:35], off offset:1068 ; 16-byte Folded Spill
	v_fma_f64 v[80:81], v[12:13], v[8:9], -v[0:1]
	v_mul_f64 v[0:1], v[12:13], v[10:11]
	v_add_f64 v[12:13], v[16:17], v[20:21]
	s_delay_alu instid0(VALU_DEP_2) | instskip(SKIP_3) | instid1(VALU_DEP_1)
	v_fma_f64 v[82:83], v[14:15], v[8:9], v[0:1]
	ds_load_b128 v[0:3], v88 offset:16640
	s_waitcnt lgkmcnt(0)
	v_mul_f64 v[8:9], v[2:3], v[34:35]
	v_fma_f64 v[84:85], v[0:1], v[32:33], -v[8:9]
	v_mul_f64 v[0:1], v[0:1], v[34:35]
	s_delay_alu instid0(VALU_DEP_1)
	v_fma_f64 v[86:87], v[2:3], v[32:33], v[0:1]
	ds_load_b128 v[0:3], v88
	ds_load_b128 v[8:11], v88 offset:832
	s_waitcnt lgkmcnt(1)
	v_fma_f64 v[32:33], v[12:13], -0.5, v[0:1]
	v_add_f64 v[12:13], v[18:19], v[22:23]
	v_add_f64 v[0:1], v[0:1], v[16:17]
	s_delay_alu instid0(VALU_DEP_2) | instskip(SKIP_2) | instid1(VALU_DEP_4)
	v_fma_f64 v[34:35], v[12:13], -0.5, v[2:3]
	v_add_f64 v[2:3], v[2:3], v[18:19]
	v_add_f64 v[18:19], v[18:19], -v[22:23]
	v_add_f64 v[12:13], v[0:1], v[20:21]
	v_add_f64 v[0:1], v[16:17], -v[20:21]
	s_delay_alu instid0(VALU_DEP_4)
	v_add_f64 v[14:15], v[2:3], v[22:23]
	v_add_f64 v[2:3], v[26:27], v[30:31]
	v_fma_f64 v[16:17], v[18:19], s[2:3], v[32:33]
	v_fma_f64 v[20:21], v[18:19], s[10:11], v[32:33]
	;; [unrolled: 1-line block ×4, first 2 shown]
	v_add_f64 v[0:1], v[24:25], v[28:29]
	s_waitcnt lgkmcnt(0)
	v_fma_f64 v[2:3], v[2:3], -0.5, v[10:11]
	v_add_f64 v[10:11], v[10:11], v[26:27]
	v_add_f64 v[26:27], v[26:27], -v[30:31]
	s_delay_alu instid0(VALU_DEP_4) | instskip(SKIP_1) | instid1(VALU_DEP_4)
	v_fma_f64 v[0:1], v[0:1], -0.5, v[8:9]
	v_add_f64 v[8:9], v[8:9], v[24:25]
	v_add_f64 v[10:11], v[10:11], v[30:31]
	v_add_f64 v[30:31], v[24:25], -v[28:29]
	s_delay_alu instid0(VALU_DEP_4) | instskip(NEXT) | instid1(VALU_DEP_4)
	v_fma_f64 v[24:25], v[26:27], s[2:3], v[0:1]
	v_add_f64 v[8:9], v[8:9], v[28:29]
	v_fma_f64 v[28:29], v[26:27], s[10:11], v[0:1]
	s_delay_alu instid0(VALU_DEP_4)
	v_fma_f64 v[26:27], v[30:31], s[10:11], v[2:3]
	v_fma_f64 v[30:31], v[30:31], s[2:3], v[2:3]
	ds_load_b128 v[0:3], v88 offset:1664
	ds_load_b128 v[32:35], v88 offset:2496
	s_waitcnt lgkmcnt(1)
	v_fma_f64 v[44:45], v[44:45], -0.5, v[0:1]
	v_fma_f64 v[46:47], v[46:47], -0.5, v[2:3]
	v_add_f64 v[2:3], v[2:3], v[36:37]
	v_add_f64 v[0:1], v[0:1], v[40:41]
	s_delay_alu instid0(VALU_DEP_2) | instskip(NEXT) | instid1(VALU_DEP_2)
	v_add_f64 v[38:39], v[2:3], v[38:39]
	v_add_f64 v[36:37], v[0:1], v[42:43]
	v_add_f64 v[0:1], v[40:41], -v[42:43]
	v_add_f64 v[2:3], v[50:51], v[54:55]
	v_fma_f64 v[40:41], v[56:57], s[2:3], v[44:45]
	v_fma_f64 v[44:45], v[56:57], s[10:11], v[44:45]
	s_delay_alu instid0(VALU_DEP_4)
	v_fma_f64 v[42:43], v[0:1], s[10:11], v[46:47]
	v_fma_f64 v[46:47], v[0:1], s[2:3], v[46:47]
	v_add_f64 v[0:1], v[48:49], v[52:53]
	s_waitcnt lgkmcnt(0)
	v_fma_f64 v[2:3], v[2:3], -0.5, v[34:35]
	v_add_f64 v[34:35], v[34:35], v[50:51]
	v_add_f64 v[50:51], v[50:51], -v[54:55]
	s_delay_alu instid0(VALU_DEP_4) | instskip(SKIP_1) | instid1(VALU_DEP_4)
	v_fma_f64 v[0:1], v[0:1], -0.5, v[32:33]
	v_add_f64 v[32:33], v[32:33], v[48:49]
	v_add_f64 v[34:35], v[34:35], v[54:55]
	v_add_f64 v[54:55], v[48:49], -v[52:53]
	s_delay_alu instid0(VALU_DEP_4) | instskip(NEXT) | instid1(VALU_DEP_4)
	v_fma_f64 v[48:49], v[50:51], s[2:3], v[0:1]
	v_add_f64 v[32:33], v[32:33], v[52:53]
	v_fma_f64 v[52:53], v[50:51], s[10:11], v[0:1]
	s_delay_alu instid0(VALU_DEP_4)
	v_fma_f64 v[50:51], v[54:55], s[10:11], v[2:3]
	v_fma_f64 v[54:55], v[54:55], s[2:3], v[2:3]
	ds_load_b128 v[0:3], v88 offset:3328
	ds_load_b128 v[56:59], v88 offset:4160
	s_waitcnt lgkmcnt(1)
	v_fma_f64 v[68:69], v[68:69], -0.5, v[0:1]
	v_add_f64 v[0:1], v[0:1], v[64:65]
	v_fma_f64 v[70:71], v[70:71], -0.5, v[2:3]
	v_add_f64 v[2:3], v[2:3], v[60:61]
	s_delay_alu instid0(VALU_DEP_3) | instskip(SKIP_1) | instid1(VALU_DEP_3)
	v_add_f64 v[60:61], v[0:1], v[66:67]
	v_add_f64 v[0:1], v[64:65], -v[66:67]
	v_add_f64 v[62:63], v[2:3], v[62:63]
	v_add_f64 v[2:3], v[74:75], v[78:79]
	v_fma_f64 v[64:65], v[90:91], s[2:3], v[68:69]
	v_fma_f64 v[68:69], v[90:91], s[10:11], v[68:69]
	v_add_f64 v[90:91], v[72:73], -v[76:77]
	v_fma_f64 v[66:67], v[0:1], s[10:11], v[70:71]
	v_fma_f64 v[70:71], v[0:1], s[2:3], v[70:71]
	v_add_f64 v[0:1], v[72:73], v[76:77]
	s_waitcnt lgkmcnt(0)
	v_fma_f64 v[2:3], v[2:3], -0.5, v[58:59]
	v_add_f64 v[58:59], v[58:59], v[74:75]
	v_add_f64 v[74:75], v[74:75], -v[78:79]
	s_delay_alu instid0(VALU_DEP_4) | instskip(SKIP_1) | instid1(VALU_DEP_4)
	v_fma_f64 v[0:1], v[0:1], -0.5, v[56:57]
	v_add_f64 v[56:57], v[56:57], v[72:73]
	v_add_f64 v[58:59], v[58:59], v[78:79]
	v_fma_f64 v[78:79], v[90:91], s[2:3], v[2:3]
	s_delay_alu instid0(VALU_DEP_4) | instskip(NEXT) | instid1(VALU_DEP_4)
	v_fma_f64 v[72:73], v[74:75], s[2:3], v[0:1]
	v_add_f64 v[56:57], v[56:57], v[76:77]
	v_fma_f64 v[76:77], v[74:75], s[10:11], v[0:1]
	v_add_f64 v[0:1], v[80:81], v[84:85]
	;; [unrolled: 2-line block ×3, first 2 shown]
	v_add_f64 v[90:91], v[82:83], -v[86:87]
	s_delay_alu instid0(VALU_DEP_4) | instskip(SKIP_1) | instid1(VALU_DEP_4)
	v_fma_f64 v[0:1], v[0:1], -0.5, v[4:5]
	v_add_f64 v[4:5], v[4:5], v[80:81]
	v_fma_f64 v[2:3], v[2:3], -0.5, v[6:7]
	v_add_f64 v[6:7], v[6:7], v[82:83]
	s_delay_alu instid0(VALU_DEP_3) | instskip(SKIP_1) | instid1(VALU_DEP_3)
	v_add_f64 v[4:5], v[4:5], v[84:85]
	v_add_f64 v[84:85], v[80:81], -v[84:85]
	v_add_f64 v[6:7], v[6:7], v[86:87]
	v_fma_f64 v[80:81], v[90:91], s[2:3], v[0:1]
	v_fma_f64 v[0:1], v[90:91], s[10:11], v[0:1]
	s_delay_alu instid0(VALU_DEP_4)
	v_fma_f64 v[82:83], v[84:85], s[10:11], v[2:3]
	ds_store_b128 v88, v[12:15]
	ds_store_b128 v88, v[8:11] offset:832
	ds_store_b128 v88, v[36:39] offset:1664
	;; [unrolled: 1-line block ×19, first 2 shown]
	s_clause 0x1
	scratch_load_b32 v76, off, off offset:132
	scratch_load_b32 v77, off, off offset:140
	v_fma_f64 v[2:3], v[84:85], s[2:3], v[2:3]
	ds_store_b128 v88, v[0:3] offset:16640
	s_waitcnt vmcnt(0) lgkmcnt(0)
	s_waitcnt_vscnt null, 0x0
	s_barrier
	buffer_gl0_inv
	v_add_co_u32 v4, s1, 0x4000, v76
	s_delay_alu instid0(VALU_DEP_1) | instskip(SKIP_1) | instid1(VALU_DEP_1)
	v_add_co_ci_u32_e64 v5, s1, 0, v77, s1
	v_add_co_u32 v96, s1, 0x8000, v76
	v_add_co_ci_u32_e64 v97, s1, 0, v77, s1
	scratch_store_b64 off, v[4:5], off offset:1084 ; 8-byte Folded Spill
	global_load_b128 v[4:7], v[4:5], off offset:1088
	ds_load_b128 v[8:11], v88
	ds_load_b128 v[12:15], v88 offset:832
	v_add_co_u32 v44, s1, 0x6000, v76
	s_delay_alu instid0(VALU_DEP_1) | instskip(SKIP_4) | instid1(VALU_DEP_2)
	v_add_co_ci_u32_e64 v45, s1, 0, v77, s1
	global_load_b128 v[16:19], v[96:97], off offset:928
	s_waitcnt vmcnt(1) lgkmcnt(1)
	v_mul_f64 v[20:21], v[10:11], v[6:7]
	v_mul_f64 v[22:23], v[8:9], v[6:7]
	v_fma_f64 v[6:7], v[8:9], v[4:5], -v[20:21]
	s_delay_alu instid0(VALU_DEP_2)
	v_fma_f64 v[8:9], v[10:11], v[4:5], v[22:23]
	global_load_b128 v[20:23], v[44:45], off offset:1632
	ds_load_b128 v[24:27], v88 offset:8736
	ds_load_b128 v[28:31], v88 offset:9568
	global_load_b128 v[32:35], v[44:45], off offset:384
	s_waitcnt vmcnt(1) lgkmcnt(1)
	v_mul_f64 v[4:5], v[26:27], v[22:23]
	v_mul_f64 v[10:11], v[24:25], v[22:23]
	s_delay_alu instid0(VALU_DEP_2) | instskip(SKIP_1) | instid1(VALU_DEP_1)
	v_fma_f64 v[22:23], v[24:25], v[20:21], -v[4:5]
	v_add_co_u32 v4, s1, 0x4440, v76
	v_add_co_ci_u32_e64 v5, s1, 0, v77, s1
	s_clause 0x1
	global_load_b128 v[36:39], v[4:5], off offset:832
	global_load_b128 v[40:43], v[4:5], off offset:1664
	v_fma_f64 v[24:25], v[26:27], v[20:21], v[10:11]
	s_waitcnt vmcnt(1)
	v_mul_f64 v[10:11], v[14:15], v[38:39]
	v_mul_f64 v[20:21], v[12:13], v[38:39]
	s_delay_alu instid0(VALU_DEP_2) | instskip(NEXT) | instid1(VALU_DEP_2)
	v_fma_f64 v[10:11], v[12:13], v[36:37], -v[10:11]
	v_fma_f64 v[12:13], v[14:15], v[36:37], v[20:21]
	s_clause 0x1
	global_load_b128 v[36:39], v[44:45], off offset:2464
	global_load_b128 v[44:47], v[44:45], off offset:3296
	s_waitcnt vmcnt(1) lgkmcnt(0)
	v_mul_f64 v[14:15], v[30:31], v[38:39]
	v_mul_f64 v[20:21], v[28:29], v[38:39]
	s_delay_alu instid0(VALU_DEP_2) | instskip(NEXT) | instid1(VALU_DEP_2)
	v_fma_f64 v[26:27], v[28:29], v[36:37], -v[14:15]
	v_fma_f64 v[28:29], v[30:31], v[36:37], v[20:21]
	ds_load_b128 v[36:39], v88 offset:1664
	ds_load_b128 v[48:51], v88 offset:2496
	s_waitcnt lgkmcnt(1)
	v_mul_f64 v[14:15], v[38:39], v[42:43]
	v_mul_f64 v[20:21], v[36:37], v[42:43]
	s_delay_alu instid0(VALU_DEP_2) | instskip(NEXT) | instid1(VALU_DEP_2)
	v_fma_f64 v[36:37], v[36:37], v[40:41], -v[14:15]
	v_fma_f64 v[38:39], v[38:39], v[40:41], v[20:21]
	ds_load_b128 v[40:43], v88 offset:10400
	ds_load_b128 v[52:55], v88 offset:11232
	s_waitcnt vmcnt(0) lgkmcnt(1)
	v_mul_f64 v[14:15], v[42:43], v[46:47]
	v_mul_f64 v[20:21], v[40:41], v[46:47]
	s_delay_alu instid0(VALU_DEP_2) | instskip(NEXT) | instid1(VALU_DEP_2)
	v_fma_f64 v[40:41], v[40:41], v[44:45], -v[14:15]
	v_fma_f64 v[42:43], v[42:43], v[44:45], v[20:21]
	s_clause 0x1
	global_load_b128 v[44:47], v[4:5], off offset:2496
	global_load_b128 v[56:59], v[4:5], off offset:3328
	s_waitcnt vmcnt(1)
	v_mul_f64 v[14:15], v[50:51], v[46:47]
	v_mul_f64 v[20:21], v[48:49], v[46:47]
	s_delay_alu instid0(VALU_DEP_2) | instskip(SKIP_1) | instid1(VALU_DEP_1)
	v_fma_f64 v[46:47], v[48:49], v[44:45], -v[14:15]
	v_add_co_u32 v14, s1, 0x7000, v76
	v_add_co_ci_u32_e64 v15, s1, 0, v77, s1
	s_clause 0x1
	global_load_b128 v[60:63], v[14:15], off offset:32
	global_load_b128 v[64:67], v[14:15], off offset:864
	v_fma_f64 v[48:49], v[50:51], v[44:45], v[20:21]
	s_waitcnt vmcnt(1) lgkmcnt(0)
	v_mul_f64 v[20:21], v[54:55], v[62:63]
	v_mul_f64 v[30:31], v[52:53], v[62:63]
	s_delay_alu instid0(VALU_DEP_2) | instskip(NEXT) | instid1(VALU_DEP_2)
	v_fma_f64 v[50:51], v[52:53], v[60:61], -v[20:21]
	v_fma_f64 v[52:53], v[54:55], v[60:61], v[30:31]
	ds_load_b128 v[60:63], v88 offset:3328
	ds_load_b128 v[68:71], v88 offset:4160
	s_waitcnt lgkmcnt(1)
	v_mul_f64 v[20:21], v[62:63], v[58:59]
	v_mul_f64 v[30:31], v[60:61], v[58:59]
	s_delay_alu instid0(VALU_DEP_2)
	v_fma_f64 v[54:55], v[60:61], v[56:57], -v[20:21]
	ds_load_b128 v[58:61], v88 offset:12064
	ds_load_b128 v[72:75], v88 offset:12896
	v_fma_f64 v[56:57], v[62:63], v[56:57], v[30:31]
	s_waitcnt vmcnt(0) lgkmcnt(1)
	v_mul_f64 v[20:21], v[60:61], v[66:67]
	v_mul_f64 v[30:31], v[58:59], v[66:67]
	s_delay_alu instid0(VALU_DEP_2) | instskip(SKIP_1) | instid1(VALU_DEP_1)
	v_fma_f64 v[58:59], v[58:59], v[64:65], -v[20:21]
	v_add_co_u32 v20, s1, 0x5000, v76
	v_add_co_ci_u32_e64 v21, s1, 0, v77, s1
	s_delay_alu instid0(VALU_DEP_4)
	v_fma_f64 v[60:61], v[60:61], v[64:65], v[30:31]
	s_clause 0x1
	global_load_b128 v[62:65], v[20:21], off offset:1152
	global_load_b128 v[76:79], v[14:15], off offset:3360
	s_waitcnt vmcnt(1)
	v_mul_f64 v[30:31], v[70:71], v[64:65]
	v_mul_f64 v[44:45], v[68:69], v[64:65]
	s_delay_alu instid0(VALU_DEP_2) | instskip(NEXT) | instid1(VALU_DEP_2)
	v_fma_f64 v[64:65], v[68:69], v[62:63], -v[30:31]
	v_fma_f64 v[66:67], v[70:71], v[62:63], v[44:45]
	s_clause 0x3
	global_load_b128 v[68:71], v[14:15], off offset:1696
	global_load_b128 v[80:83], v[14:15], off offset:2528
	;; [unrolled: 1-line block ×4, first 2 shown]
	ds_load_b128 v[128:131], v88 offset:4992
	ds_load_b128 v[156:159], v88 offset:5824
	s_waitcnt vmcnt(3) lgkmcnt(2)
	v_mul_f64 v[14:15], v[74:75], v[70:71]
	v_mul_f64 v[30:31], v[72:73], v[70:71]
	s_delay_alu instid0(VALU_DEP_2) | instskip(NEXT) | instid1(VALU_DEP_2)
	v_fma_f64 v[70:71], v[72:73], v[68:69], -v[14:15]
	v_fma_f64 v[72:73], v[74:75], v[68:69], v[30:31]
	s_waitcnt vmcnt(1) lgkmcnt(1)
	v_mul_f64 v[14:15], v[130:131], v[86:87]
	v_mul_f64 v[30:31], v[128:129], v[86:87]
	s_delay_alu instid0(VALU_DEP_2) | instskip(NEXT) | instid1(VALU_DEP_2)
	v_fma_f64 v[128:129], v[128:129], v[84:85], -v[14:15]
	v_fma_f64 v[130:131], v[130:131], v[84:85], v[30:31]
	ds_load_b128 v[84:87], v88 offset:13728
	ds_load_b128 v[160:163], v88 offset:14560
	s_waitcnt lgkmcnt(1)
	v_mul_f64 v[14:15], v[86:87], v[82:83]
	v_mul_f64 v[30:31], v[84:85], v[82:83]
	s_delay_alu instid0(VALU_DEP_2) | instskip(NEXT) | instid1(VALU_DEP_2)
	v_fma_f64 v[82:83], v[84:85], v[80:81], -v[14:15]
	v_fma_f64 v[84:85], v[86:87], v[80:81], v[30:31]
	s_waitcnt vmcnt(0)
	v_mul_f64 v[14:15], v[158:159], v[92:93]
	v_mul_f64 v[30:31], v[156:157], v[92:93]
	s_delay_alu instid0(VALU_DEP_2) | instskip(NEXT) | instid1(VALU_DEP_2)
	v_fma_f64 v[92:93], v[156:157], v[90:91], -v[14:15]
	v_fma_f64 v[94:95], v[158:159], v[90:91], v[30:31]
	s_waitcnt lgkmcnt(0)
	v_mul_f64 v[14:15], v[162:163], v[78:79]
	v_mul_f64 v[30:31], v[160:161], v[78:79]
	s_clause 0x1
	global_load_b128 v[78:81], v[20:21], off offset:3648
	global_load_b128 v[156:159], v[96:97], off offset:96
	v_fma_f64 v[74:75], v[160:161], v[76:77], -v[14:15]
	v_fma_f64 v[76:77], v[162:163], v[76:77], v[30:31]
	ds_load_b128 v[160:163], v88 offset:6656
	ds_load_b128 v[168:171], v88 offset:7488
	s_waitcnt vmcnt(1) lgkmcnt(1)
	v_mul_f64 v[14:15], v[162:163], v[80:81]
	v_mul_f64 v[20:21], v[160:161], v[80:81]
	s_delay_alu instid0(VALU_DEP_2) | instskip(NEXT) | instid1(VALU_DEP_2)
	v_fma_f64 v[160:161], v[160:161], v[78:79], -v[14:15]
	v_fma_f64 v[162:163], v[162:163], v[78:79], v[20:21]
	ds_load_b128 v[78:81], v88 offset:15392
	ds_load_b128 v[172:175], v88 offset:16224
	s_waitcnt vmcnt(0) lgkmcnt(1)
	v_mul_f64 v[14:15], v[80:81], v[158:159]
	v_mul_f64 v[20:21], v[78:79], v[158:159]
	s_delay_alu instid0(VALU_DEP_2) | instskip(SKIP_1) | instid1(VALU_DEP_3)
	v_fma_f64 v[78:79], v[78:79], v[156:157], -v[14:15]
	v_mul_f64 v[14:15], v[170:171], v[34:35]
	v_fma_f64 v[80:81], v[80:81], v[156:157], v[20:21]
	v_mul_f64 v[20:21], v[168:169], v[34:35]
	s_delay_alu instid0(VALU_DEP_3) | instskip(SKIP_3) | instid1(VALU_DEP_4)
	v_fma_f64 v[30:31], v[168:169], v[32:33], -v[14:15]
	s_waitcnt lgkmcnt(0)
	v_mul_f64 v[14:15], v[174:175], v[18:19]
	v_mul_f64 v[18:19], v[172:173], v[18:19]
	v_fma_f64 v[32:33], v[170:171], v[32:33], v[20:21]
	s_delay_alu instid0(VALU_DEP_3) | instskip(NEXT) | instid1(VALU_DEP_3)
	v_fma_f64 v[14:15], v[172:173], v[16:17], -v[14:15]
	v_fma_f64 v[16:17], v[174:175], v[16:17], v[18:19]
	ds_store_b128 v88, v[6:9]
	ds_store_b128 v88, v[10:13] offset:832
	ds_store_b128 v88, v[22:25] offset:8736
	;; [unrolled: 1-line block ×19, first 2 shown]
	s_and_saveexec_b32 s2, vcc_lo
	s_cbranch_execz .LBB0_17
; %bb.16:
	v_add_co_u32 v6, s1, 0x2000, v4
	s_delay_alu instid0(VALU_DEP_1) | instskip(SKIP_1) | instid1(VALU_DEP_1)
	v_add_co_ci_u32_e64 v7, s1, 0, v5, s1
	v_add_co_u32 v8, s1, 0x4000, v4
	v_add_co_ci_u32_e64 v9, s1, 0, v5, s1
	s_clause 0x1
	global_load_b128 v[4:7], v[6:7], off offset:128
	global_load_b128 v[8:11], v[8:9], off offset:672
	ds_load_b128 v[12:15], v88 offset:8320
	ds_load_b128 v[16:19], v88 offset:17056
	s_waitcnt vmcnt(1) lgkmcnt(1)
	v_mul_f64 v[20:21], v[14:15], v[6:7]
	v_mul_f64 v[6:7], v[12:13], v[6:7]
	s_waitcnt vmcnt(0) lgkmcnt(0)
	v_mul_f64 v[22:23], v[18:19], v[10:11]
	v_mul_f64 v[24:25], v[16:17], v[10:11]
	s_delay_alu instid0(VALU_DEP_4) | instskip(NEXT) | instid1(VALU_DEP_4)
	v_fma_f64 v[10:11], v[12:13], v[4:5], -v[20:21]
	v_fma_f64 v[12:13], v[14:15], v[4:5], v[6:7]
	s_delay_alu instid0(VALU_DEP_4) | instskip(NEXT) | instid1(VALU_DEP_4)
	v_fma_f64 v[4:5], v[16:17], v[8:9], -v[22:23]
	v_fma_f64 v[6:7], v[18:19], v[8:9], v[24:25]
	ds_store_b128 v88, v[10:13] offset:8320
	ds_store_b128 v88, v[4:7] offset:17056
.LBB0_17:
	s_or_b32 exec_lo, exec_lo, s2
	s_waitcnt lgkmcnt(0)
	s_waitcnt_vscnt null, 0x0
	s_barrier
	buffer_gl0_inv
	ds_load_b128 v[76:79], v88
	ds_load_b128 v[68:71], v88 offset:832
	ds_load_b128 v[128:131], v88 offset:8736
	;; [unrolled: 1-line block ×19, first 2 shown]
	s_mov_b32 s1, exec_lo
	s_clause 0x5
	scratch_load_b128 v[132:135], off, off offset:20
	scratch_load_b128 v[136:139], off, off offset:36
	;; [unrolled: 1-line block ×6, first 2 shown]
	s_and_b32 s2, s1, vcc_lo
	s_delay_alu instid0(SALU_CYCLE_1)
	s_mov_b32 exec_lo, s2
	s_cbranch_execz .LBB0_19
; %bb.18:
	ds_load_b128 v[0:3], v88 offset:8320
	ds_load_b128 v[114:117], v88 offset:17056
.LBB0_19:
	s_or_b32 exec_lo, exec_lo, s1
	s_waitcnt vmcnt(0) lgkmcnt(0)
	s_barrier
	buffer_gl0_inv
	scratch_load_b32 v84, off, off offset:708 ; 4-byte Folded Reload
	v_add_f64 v[80:81], v[76:77], -v[128:129]
	v_add_f64 v[82:83], v[78:79], -v[130:131]
	;; [unrolled: 1-line block ×18, first 2 shown]
	v_fma_f64 v[76:77], v[76:77], 2.0, -v[80:81]
	v_fma_f64 v[78:79], v[78:79], 2.0, -v[82:83]
	;; [unrolled: 1-line block ×12, first 2 shown]
	s_waitcnt vmcnt(0)
	ds_store_b128 v84, v[80:83] offset:16
	ds_store_b128 v84, v[76:79]
	scratch_load_b32 v76, off, off offset:724 ; 4-byte Folded Reload
	v_fma_f64 v[20:21], v[20:21], 2.0, -v[40:41]
	v_fma_f64 v[22:23], v[22:23], 2.0, -v[42:43]
	;; [unrolled: 1-line block ×4, first 2 shown]
	s_waitcnt vmcnt(0)
	ds_store_b128 v76, v[68:71]
	ds_store_b128 v76, v[72:75] offset:16
	scratch_load_b32 v68, off, off offset:748 ; 4-byte Folded Reload
	s_waitcnt vmcnt(0)
	ds_store_b128 v68, v[60:63]
	ds_store_b128 v68, v[64:67] offset:16
	v_add_f64 v[60:61], v[16:17], -v[44:45]
	v_add_f64 v[62:63], v[18:19], -v[46:47]
	;; [unrolled: 1-line block ×3, first 2 shown]
	v_fma_f64 v[64:65], v[24:25], 2.0, -v[52:53]
	v_fma_f64 v[66:67], v[26:27], 2.0, -v[54:55]
	v_add_f64 v[46:47], v[2:3], -v[116:117]
	v_fma_f64 v[16:17], v[16:17], 2.0, -v[60:61]
	v_fma_f64 v[18:19], v[18:19], 2.0, -v[62:63]
	v_fma_f64 v[24:25], v[0:1], 2.0, -v[44:45]
	ds_store_b128 v98, v[4:7]
	ds_store_b128 v98, v[56:59] offset:16
	ds_store_b128 v89, v[8:11]
	ds_store_b128 v89, v[36:39] offset:16
	;; [unrolled: 2-line block ×4, first 2 shown]
	scratch_load_b32 v0, off, off offset:736 ; 4-byte Folded Reload
	v_fma_f64 v[26:27], v[2:3], 2.0, -v[46:47]
	s_waitcnt vmcnt(0)
	ds_store_b128 v0, v[20:23]
	ds_store_b128 v0, v[40:43] offset:16
	scratch_load_b32 v0, off, off offset:740 ; 4-byte Folded Reload
	s_waitcnt vmcnt(0)
	ds_store_b128 v0, v[64:67]
	ds_store_b128 v0, v[52:55] offset:16
	scratch_load_b32 v0, off, off offset:732 ; 4-byte Folded Reload
	s_waitcnt vmcnt(0)
	ds_store_b128 v0, v[28:31]
	ds_store_b128 v0, v[48:51] offset:16
	s_and_saveexec_b32 s1, vcc_lo
	s_cbranch_execz .LBB0_21
; %bb.20:
	scratch_load_b32 v0, off, off offset:1096 ; 4-byte Folded Reload
	s_waitcnt vmcnt(0)
	ds_store_b128 v0, v[24:27]
	ds_store_b128 v0, v[44:47] offset:16
.LBB0_21:
	s_or_b32 exec_lo, exec_lo, s1
	s_waitcnt lgkmcnt(0)
	s_barrier
	buffer_gl0_inv
	ds_load_b128 v[40:43], v88
	ds_load_b128 v[36:39], v88 offset:832
	ds_load_b128 v[128:131], v88 offset:8736
	;; [unrolled: 1-line block ×19, first 2 shown]
	s_and_saveexec_b32 s1, vcc_lo
	s_cbranch_execz .LBB0_23
; %bb.22:
	ds_load_b128 v[24:27], v88 offset:8320
	ds_load_b128 v[44:47], v88 offset:17056
.LBB0_23:
	s_or_b32 exec_lo, exec_lo, s1
	s_waitcnt lgkmcnt(12)
	v_mul_f64 v[90:91], v[166:167], v[70:71]
	s_waitcnt lgkmcnt(0)
	s_barrier
	buffer_gl0_inv
	v_mul_f64 v[80:81], v[166:167], v[130:131]
	v_mul_f64 v[82:83], v[166:167], v[128:129]
	;; [unrolled: 1-line block ×4, first 2 shown]
	v_fma_f64 v[90:91], v[164:165], v[68:69], v[90:91]
	v_mul_f64 v[68:69], v[166:167], v[68:69]
	v_fma_f64 v[80:81], v[164:165], v[128:129], v[80:81]
	v_fma_f64 v[82:83], v[164:165], v[130:131], -v[82:83]
	v_fma_f64 v[84:85], v[164:165], v[76:77], v[84:85]
	v_mul_f64 v[76:77], v[166:167], v[76:77]
	v_fma_f64 v[86:87], v[164:165], v[254:255], -v[86:87]
	v_fma_f64 v[68:69], v[164:165], v[70:71], -v[68:69]
	v_mul_f64 v[70:71], v[166:167], v[74:75]
	s_delay_alu instid0(VALU_DEP_4) | instskip(SKIP_1) | instid1(VALU_DEP_3)
	v_fma_f64 v[76:77], v[164:165], v[78:79], -v[76:77]
	v_mul_f64 v[78:79], v[166:167], v[254:255]
	v_fma_f64 v[70:71], v[164:165], v[72:73], v[70:71]
	v_mul_f64 v[72:73], v[166:167], v[72:73]
	s_delay_alu instid0(VALU_DEP_3) | instskip(NEXT) | instid1(VALU_DEP_2)
	v_fma_f64 v[78:79], v[164:165], v[252:253], v[78:79]
	v_fma_f64 v[72:73], v[164:165], v[74:75], -v[72:73]
	v_mul_f64 v[74:75], v[166:167], v[62:63]
	s_delay_alu instid0(VALU_DEP_1) | instskip(SKIP_1) | instid1(VALU_DEP_1)
	v_fma_f64 v[74:75], v[164:165], v[60:61], v[74:75]
	v_mul_f64 v[60:61], v[166:167], v[60:61]
	v_fma_f64 v[60:61], v[164:165], v[62:63], -v[60:61]
	v_mul_f64 v[62:63], v[166:167], v[66:67]
	s_delay_alu instid0(VALU_DEP_1) | instskip(SKIP_1) | instid1(VALU_DEP_1)
	v_fma_f64 v[62:63], v[164:165], v[64:65], v[62:63]
	v_mul_f64 v[64:65], v[166:167], v[64:65]
	v_fma_f64 v[64:65], v[164:165], v[66:67], -v[64:65]
	v_mul_f64 v[66:67], v[166:167], v[54:55]
	s_delay_alu instid0(VALU_DEP_1) | instskip(SKIP_1) | instid1(VALU_DEP_2)
	v_fma_f64 v[66:67], v[164:165], v[52:53], v[66:67]
	v_mul_f64 v[52:53], v[166:167], v[52:53]
	v_add_f64 v[252:253], v[0:1], -v[66:67]
	s_delay_alu instid0(VALU_DEP_2) | instskip(SKIP_1) | instid1(VALU_DEP_3)
	v_fma_f64 v[92:93], v[164:165], v[54:55], -v[52:53]
	v_mul_f64 v[52:53], v[166:167], v[58:59]
	v_fma_f64 v[0:1], v[0:1], 2.0, -v[252:253]
	s_delay_alu instid0(VALU_DEP_3) | instskip(NEXT) | instid1(VALU_DEP_3)
	v_add_f64 v[254:255], v[2:3], -v[92:93]
	v_fma_f64 v[94:95], v[164:165], v[56:57], v[52:53]
	v_mul_f64 v[52:53], v[166:167], v[56:57]
	s_delay_alu instid0(VALU_DEP_3) | instskip(NEXT) | instid1(VALU_DEP_2)
	v_fma_f64 v[2:3], v[2:3], 2.0, -v[254:255]
	v_fma_f64 v[56:57], v[164:165], v[58:59], -v[52:53]
	v_mul_f64 v[52:53], v[166:167], v[50:51]
	s_delay_alu instid0(VALU_DEP_1) | instskip(SKIP_1) | instid1(VALU_DEP_1)
	v_fma_f64 v[58:59], v[164:165], v[48:49], v[52:53]
	v_mul_f64 v[48:49], v[166:167], v[48:49]
	v_fma_f64 v[96:97], v[164:165], v[50:51], -v[48:49]
	v_mul_f64 v[48:49], v[166:167], v[46:47]
	s_delay_alu instid0(VALU_DEP_1) | instskip(SKIP_3) | instid1(VALU_DEP_2)
	v_fma_f64 v[98:99], v[164:165], v[44:45], v[48:49]
	scratch_load_b32 v48, off, off offset:792 ; 4-byte Folded Reload
	v_mul_f64 v[44:45], v[166:167], v[44:45]
	v_add_f64 v[166:167], v[10:11], -v[64:65]
	v_fma_f64 v[128:129], v[164:165], v[46:47], -v[44:45]
	v_add_f64 v[44:45], v[40:41], -v[80:81]
	v_add_f64 v[46:47], v[42:43], -v[82:83]
	s_delay_alu instid0(VALU_DEP_4)
	v_fma_f64 v[54:55], v[10:11], 2.0, -v[166:167]
	v_add_f64 v[10:11], v[6:7], -v[56:57]
	v_add_f64 v[164:165], v[8:9], -v[62:63]
	v_fma_f64 v[40:41], v[40:41], 2.0, -v[44:45]
	v_fma_f64 v[42:43], v[42:43], 2.0, -v[46:47]
	s_waitcnt vmcnt(0)
	ds_store_b128 v48, v[44:47] offset:32
	ds_store_b128 v48, v[40:43]
	scratch_load_b32 v44, off, off offset:788 ; 4-byte Folded Reload
	v_add_f64 v[40:41], v[36:37], -v[84:85]
	v_add_f64 v[42:43], v[38:39], -v[76:77]
	;; [unrolled: 1-line block ×3, first 2 shown]
	v_fma_f64 v[52:53], v[8:9], 2.0, -v[164:165]
	v_add_f64 v[8:9], v[4:5], -v[94:95]
	v_fma_f64 v[6:7], v[6:7], 2.0, -v[10:11]
	v_fma_f64 v[36:37], v[36:37], 2.0, -v[40:41]
	;; [unrolled: 1-line block ×4, first 2 shown]
	v_add_f64 v[18:19], v[14:15], -v[96:97]
	v_fma_f64 v[4:5], v[4:5], 2.0, -v[8:9]
	s_waitcnt vmcnt(0)
	ds_store_b128 v44, v[36:39]
	ds_store_b128 v44, v[40:43] offset:32
	scratch_load_b32 v40, off, off offset:776 ; 4-byte Folded Reload
	v_add_f64 v[36:37], v[32:33], -v[78:79]
	v_add_f64 v[38:39], v[34:35], -v[86:87]
	;; [unrolled: 1-line block ×3, first 2 shown]
	v_fma_f64 v[14:15], v[14:15], 2.0, -v[18:19]
	s_delay_alu instid0(VALU_DEP_4) | instskip(NEXT) | instid1(VALU_DEP_4)
	v_fma_f64 v[32:33], v[32:33], 2.0, -v[36:37]
	v_fma_f64 v[34:35], v[34:35], 2.0, -v[38:39]
	s_delay_alu instid0(VALU_DEP_4)
	v_fma_f64 v[48:49], v[16:17], 2.0, -v[44:45]
	v_add_f64 v[16:17], v[12:13], -v[58:59]
	s_waitcnt vmcnt(0)
	ds_store_b128 v40, v[32:35]
	ds_store_b128 v40, v[36:39] offset:32
	scratch_load_b32 v56, off, off offset:772 ; 4-byte Folded Reload
	v_add_f64 v[32:33], v[28:29], -v[90:91]
	v_add_f64 v[34:35], v[30:31], -v[68:69]
	;; [unrolled: 1-line block ×4, first 2 shown]
	v_fma_f64 v[12:13], v[12:13], 2.0, -v[16:17]
	v_fma_f64 v[28:29], v[28:29], 2.0, -v[32:33]
	;; [unrolled: 1-line block ×5, first 2 shown]
	v_add_f64 v[20:21], v[24:25], -v[98:99]
	v_add_f64 v[22:23], v[26:27], -v[128:129]
	s_waitcnt vmcnt(0)
	ds_store_b128 v56, v[28:31]
	ds_store_b128 v56, v[32:35] offset:32
	scratch_load_b32 v28, off, off offset:768 ; 4-byte Folded Reload
	v_fma_f64 v[24:25], v[24:25], 2.0, -v[20:21]
	v_fma_f64 v[26:27], v[26:27], 2.0, -v[22:23]
	s_waitcnt vmcnt(0)
	ds_store_b128 v28, v[40:43]
	ds_store_b128 v28, v[36:39] offset:32
	scratch_load_b32 v28, off, off offset:764 ; 4-byte Folded Reload
	s_waitcnt vmcnt(0)
	ds_store_b128 v28, v[48:51]
	ds_store_b128 v28, v[44:47] offset:32
	scratch_load_b32 v28, off, off offset:760 ; 4-byte Folded Reload
	;; [unrolled: 4-line block ×5, first 2 shown]
	s_waitcnt vmcnt(0)
	ds_store_b128 v28, v[12:15]
	ds_store_b128 v28, v[16:19] offset:32
	s_and_saveexec_b32 s1, vcc_lo
	s_cbranch_execz .LBB0_25
; %bb.24:
	s_clause 0x1
	scratch_load_b32 v28, off, off offset:1092
	scratch_load_b32 v29, off, off offset:628
	s_waitcnt vmcnt(0)
	v_and_or_b32 v28, 0x47c, v29, v28
	s_delay_alu instid0(VALU_DEP_1)
	v_lshlrev_b32_e32 v28, 4, v28
	ds_store_b128 v28, v[24:27]
	ds_store_b128 v28, v[20:23] offset:32
.LBB0_25:
	s_or_b32 exec_lo, exec_lo, s1
	s_waitcnt lgkmcnt(0)
	s_barrier
	buffer_gl0_inv
	ds_load_b128 v[28:31], v88
	ds_load_b128 v[76:79], v88 offset:1344
	ds_load_b128 v[68:71], v88 offset:2688
	;; [unrolled: 1-line block ×12, first 2 shown]
	s_and_saveexec_b32 s1, s0
	s_cbranch_execz .LBB0_27
; %bb.26:
	ds_load_b128 v[164:167], v88 offset:832
	ds_load_b128 v[0:3], v88 offset:2176
	ds_load_b128 v[252:255], v88 offset:3520
	ds_load_b128 v[4:7], v88 offset:4864
	ds_load_b128 v[8:11], v88 offset:6208
	ds_load_b128 v[12:15], v88 offset:7552
	ds_load_b128 v[16:19], v88 offset:8896
	ds_load_b128 v[24:27], v88 offset:10240
	ds_load_b128 v[20:23], v88 offset:11584
	ds_load_b128 v[80:83], v88 offset:12928
	s_waitcnt lgkmcnt(0)
	scratch_store_b128 off, v[80:83], off offset:164 ; 16-byte Folded Spill
	ds_load_b128 v[80:83], v88 offset:14272
	s_waitcnt lgkmcnt(0)
	scratch_store_b128 off, v[80:83], off offset:148 ; 16-byte Folded Spill
	ds_load_b128 v[80:83], v88 offset:15616
	;; [unrolled: 3-line block ×3, first 2 shown]
	s_waitcnt lgkmcnt(0)
	scratch_store_b128 off, v[80:83], off offset:116 ; 16-byte Folded Spill
.LBB0_27:
	s_or_b32 exec_lo, exec_lo, s1
	scratch_load_b128 v[114:117], off, off offset:180 ; 16-byte Folded Reload
	s_waitcnt lgkmcnt(11)
	v_mul_f64 v[80:81], v[108:109], v[78:79]
	v_mul_f64 v[82:83], v[108:109], v[76:77]
	s_waitcnt lgkmcnt(0)
	v_mul_f64 v[84:85], v[112:113], v[72:73]
	v_mul_f64 v[90:91], v[104:105], v[64:65]
	;; [unrolled: 1-line block ×19, first 2 shown]
	s_mov_b32 s44, 0x4267c47c
	s_mov_b32 s22, 0xe00740e9
	;; [unrolled: 1-line block ×17, first 2 shown]
	v_fma_f64 v[76:77], v[106:107], v[76:77], v[80:81]
	v_fma_f64 v[78:79], v[106:107], v[78:79], -v[82:83]
	v_fma_f64 v[100:101], v[110:111], v[74:75], -v[84:85]
	s_mov_b32 s19, 0xbfedeba7
	s_mov_b32 s17, 0xbfd6b1d8
	;; [unrolled: 1-line block ×3, first 2 shown]
	v_fma_f64 v[82:83], v[118:119], v[62:63], -v[96:97]
	s_mov_b32 s29, 0xbfe7f3cc
	s_mov_b32 s27, 0xbfef11f4
	v_fma_f64 v[40:41], v[144:145], v[40:41], v[158:159]
	v_fma_f64 v[42:43], v[144:145], v[42:43], -v[160:161]
	v_fma_f64 v[74:75], v[110:111], v[72:73], v[170:171]
	v_fma_f64 v[72:73], v[132:133], v[54:55], -v[128:129]
	v_fma_f64 v[50:51], v[136:137], v[50:51], -v[188:189]
	v_mul_f64 v[130:131], v[142:143], v[46:47]
	v_fma_f64 v[62:63], v[122:123], v[58:59], -v[162:163]
	v_fma_f64 v[46:47], v[140:141], v[46:47], -v[156:157]
	v_fma_f64 v[36:37], v[152:153], v[36:37], v[168:169]
	v_fma_f64 v[38:39], v[152:153], v[38:39], -v[172:173]
	v_fma_f64 v[32:33], v[148:149], v[32:33], v[176:177]
	v_fma_f64 v[48:49], v[136:137], v[48:49], v[186:187]
	v_fma_f64 v[34:35], v[148:149], v[34:35], -v[184:185]
	s_mov_b32 s30, 0x4bc48dbf
	s_mov_b32 s25, 0x3fddbe06
	;; [unrolled: 1-line block ×13, first 2 shown]
	s_clause 0x4
	scratch_store_b128 off, v[102:105], off offset:628
	scratch_store_b128 off, v[110:113], off offset:660
	;; [unrolled: 1-line block ×5, first 2 shown]
	v_add_f64 v[156:157], v[76:77], v[74:75]
	v_add_f64 v[162:163], v[72:73], v[50:51]
	v_add_f64 v[168:169], v[72:73], -v[50:51]
	v_fma_f64 v[44:45], v[140:141], v[44:45], v[130:131]
	v_add_f64 v[128:129], v[82:83], -v[62:63]
	v_add_f64 v[130:131], v[82:83], v[62:63]
	v_mul_f64 v[228:229], v[162:163], s[16:17]
	v_mul_f64 v[226:227], v[168:169], s[18:19]
	;; [unrolled: 1-line block ×23, first 2 shown]
	s_waitcnt vmcnt(0)
	v_mul_f64 v[86:87], v[116:117], v[68:69]
	v_mul_f64 v[92:93], v[116:117], v[70:71]
	v_fma_f64 v[116:117], v[102:103], v[66:67], -v[90:91]
	v_fma_f64 v[66:67], v[102:103], v[64:65], v[174:175]
	v_add_f64 v[90:91], v[28:29], v[76:77]
	v_add_f64 v[76:77], v[76:77], -v[74:75]
	scratch_store_b64 off, v[100:101], off offset:132 ; 8-byte Folded Spill
	v_fma_f64 v[80:81], v[114:115], v[70:71], -v[86:87]
	v_fma_f64 v[84:85], v[114:115], v[68:69], v[92:93]
	scratch_store_b64 off, v[116:117], off offset:140 ; 8-byte Folded Spill
	v_add_f64 v[92:93], v[30:31], v[78:79]
	v_fma_f64 v[86:87], v[118:119], v[60:61], v[94:95]
	v_fma_f64 v[70:71], v[132:133], v[52:53], v[98:99]
	v_add_f64 v[94:95], v[78:79], -v[100:101]
	v_add_f64 v[78:79], v[78:79], v[100:101]
	v_fma_f64 v[52:53], v[122:123], v[56:57], v[178:179]
	v_dual_mov_b32 v58, v144 :: v_dual_mov_b32 v59, v145
	v_dual_mov_b32 v60, v146 :: v_dual_mov_b32 v61, v147
	v_add_f64 v[146:147], v[44:45], v[32:33]
	v_add_f64 v[96:97], v[80:81], -v[116:117]
	v_add_f64 v[98:99], v[80:81], v[116:117]
	v_add_f64 v[158:159], v[84:85], v[66:67]
	v_add_f64 v[160:161], v[84:85], -v[66:67]
	v_add_f64 v[84:85], v[90:91], v[84:85]
	v_add_f64 v[80:81], v[92:93], v[80:81]
	v_mul_f64 v[90:91], v[94:95], s[44:45]
	v_mul_f64 v[92:93], v[78:79], s[22:23]
	;; [unrolled: 1-line block ×11, first 2 shown]
	v_add_f64 v[64:65], v[86:87], v[52:53]
	v_add_f64 v[68:69], v[86:87], -v[52:53]
	v_add_f64 v[54:55], v[70:71], v[48:49]
	v_add_f64 v[56:57], v[70:71], -v[48:49]
	v_mul_f64 v[94:95], v[94:95], s[30:31]
	v_mul_f64 v[190:191], v[96:97], s[12:13]
	;; [unrolled: 1-line block ×5, first 2 shown]
	v_add_f64 v[84:85], v[84:85], v[86:87]
	v_add_f64 v[80:81], v[80:81], v[82:83]
	v_mul_f64 v[150:151], v[96:97], s[30:31]
	v_mul_f64 v[152:153], v[98:99], s[26:27]
	;; [unrolled: 1-line block ×8, first 2 shown]
	v_fma_f64 v[86:87], v[156:157], s[22:23], v[90:91]
	v_fma_f64 v[162:163], v[76:77], s[24:25], v[92:93]
	v_fma_f64 v[90:91], v[156:157], s[22:23], -v[90:91]
	v_fma_f64 v[92:93], v[76:77], s[44:45], v[92:93]
	v_fma_f64 v[168:169], v[156:157], s[2:3], v[170:171]
	v_fma_f64 v[248:249], v[76:77], s[34:35], v[172:173]
	v_fma_f64 v[170:171], v[156:157], s[2:3], -v[170:171]
	v_fma_f64 v[172:173], v[76:77], s[12:13], v[172:173]
	;; [unrolled: 4-line block ×5, first 2 shown]
	v_fma_f64 v[112:113], v[76:77], s[42:43], v[78:79]
	v_fma_f64 v[76:77], v[76:77], s[30:31], v[78:79]
	v_mul_f64 v[96:97], v[96:97], s[24:25]
	v_fma_f64 v[188:189], v[156:157], s[26:27], v[94:95]
	v_fma_f64 v[94:95], v[156:157], s[26:27], -v[94:95]
	v_fma_f64 v[78:79], v[158:159], s[2:3], v[190:191]
	v_fma_f64 v[114:115], v[160:161], s[34:35], v[180:181]
	v_fma_f64 v[156:157], v[158:159], s[2:3], -v[190:191]
	v_add_f64 v[70:71], v[84:85], v[70:71]
	v_add_f64 v[72:73], v[80:81], v[72:73]
	v_fma_f64 v[180:181], v[160:161], s[12:13], v[180:181]
	v_fma_f64 v[190:191], v[158:159], s[16:17], v[182:183]
	v_fma_f64 v[116:117], v[160:161], s[36:37], v[148:149]
	v_fma_f64 v[118:119], v[158:159], s[16:17], -v[182:183]
	v_fma_f64 v[148:149], v[160:161], s[18:19], v[148:149]
	v_fma_f64 v[182:183], v[158:159], s[26:27], v[150:151]
	v_fma_f64 v[120:121], v[160:161], s[42:43], v[152:153]
	v_fma_f64 v[122:123], v[158:159], s[26:27], -v[150:151]
	;; [unrolled: 4-line block ×4, first 2 shown]
	v_fma_f64 v[194:195], v[160:161], s[38:39], v[204:205]
	v_fma_f64 v[132:133], v[160:161], s[44:45], v[98:99]
	;; [unrolled: 1-line block ×3, first 2 shown]
	v_add_f64 v[86:87], v[28:29], v[86:87]
	v_add_f64 v[160:161], v[30:31], v[162:163]
	;; [unrolled: 1-line block ×20, first 2 shown]
	v_fma_f64 v[204:205], v[158:159], s[22:23], v[96:97]
	v_fma_f64 v[96:97], v[158:159], s[22:23], -v[96:97]
	v_fma_f64 v[134:135], v[64:65], s[20:21], v[206:207]
	v_fma_f64 v[206:207], v[64:65], s[20:21], -v[206:207]
	v_fma_f64 v[162:163], v[64:65], s[26:27], v[210:211]
	v_fma_f64 v[136:137], v[68:69], s[42:43], v[212:213]
	v_fma_f64 v[138:139], v[64:65], s[26:27], -v[210:211]
	v_fma_f64 v[210:211], v[68:69], s[30:31], v[212:213]
	v_fma_f64 v[212:213], v[64:65], s[16:17], v[214:215]
	v_add_f64 v[168:169], v[28:29], v[168:169]
	v_add_f64 v[178:179], v[30:31], v[178:179]
	;; [unrolled: 1-line block ×6, first 2 shown]
	v_fma_f64 v[140:141], v[68:69], s[18:19], v[216:217]
	v_fma_f64 v[142:143], v[64:65], s[16:17], -v[214:215]
	v_fma_f64 v[214:215], v[68:69], s[36:37], v[216:217]
	v_fma_f64 v[216:217], v[64:65], s[22:23], v[218:219]
	v_add_f64 v[78:79], v[78:79], v[86:87]
	v_fma_f64 v[218:219], v[64:65], s[22:23], -v[218:219]
	v_add_f64 v[160:161], v[114:115], v[160:161]
	v_fma_f64 v[114:115], v[64:65], s[2:3], v[222:223]
	v_add_f64 v[89:90], v[156:157], v[90:91]
	v_fma_f64 v[156:157], v[68:69], s[34:35], v[224:225]
	v_fma_f64 v[222:223], v[64:65], s[2:3], -v[222:223]
	v_add_f64 v[180:181], v[180:181], v[92:93]
	v_fma_f64 v[91:92], v[64:65], s[28:29], v[128:129]
	v_add_f64 v[248:249], v[116:117], v[248:249]
	v_add_f64 v[116:117], v[118:119], v[170:171]
	;; [unrolled: 1-line block ×11, first 2 shown]
	v_fma_f64 v[174:175], v[68:69], s[40:41], v[130:131]
	v_fma_f64 v[176:177], v[64:65], s[28:29], -v[128:129]
	v_fma_f64 v[144:145], v[68:69], s[14:15], v[130:131]
	v_fma_f64 v[70:71], v[56:57], s[36:37], v[228:229]
	;; [unrolled: 1-line block ×5, first 2 shown]
	v_fma_f64 v[104:105], v[54:55], s[28:29], -v[230:231]
	v_fma_f64 v[128:129], v[56:57], s[40:41], v[232:233]
	v_fma_f64 v[122:123], v[56:57], s[44:45], v[236:237]
	;; [unrolled: 1-line block ×9, first 2 shown]
	v_add_f64 v[82:83], v[46:47], -v[34:35]
	v_add_f64 v[46:47], v[46:47], v[34:35]
	v_add_f64 v[106:107], v[152:153], v[106:107]
	;; [unrolled: 1-line block ×6, first 2 shown]
	v_fma_f64 v[158:159], v[68:69], s[38:39], v[208:209]
	v_fma_f64 v[208:209], v[68:69], s[10:11], v[208:209]
	;; [unrolled: 1-line block ×5, first 2 shown]
	v_add_f64 v[168:169], v[190:191], v[168:169]
	v_fma_f64 v[118:119], v[54:55], s[16:17], v[226:227]
	v_fma_f64 v[68:69], v[54:55], s[16:17], -v[226:227]
	v_fma_f64 v[226:227], v[54:55], s[20:21], v[238:239]
	v_fma_f64 v[190:191], v[54:55], s[20:21], -v[238:239]
	v_fma_f64 v[238:239], v[54:55], s[26:27], -v[242:243]
	v_add_f64 v[28:29], v[40:41], v[36:37]
	v_add_f64 v[30:31], v[40:41], -v[36:37]
	v_add_f64 v[36:37], v[170:171], v[36:37]
	v_add_f64 v[40:41], v[42:43], -v[38:39]
	v_add_f64 v[42:43], v[42:43], v[38:39]
	v_add_f64 v[38:39], v[172:173], v[38:39]
	v_add_f64 v[44:45], v[44:45], -v[32:33]
	v_add_f64 v[152:153], v[154:155], v[178:179]
	v_add_f64 v[170:171], v[192:193], v[184:185]
	;; [unrolled: 1-line block ×10, first 2 shown]
	v_fma_f64 v[130:131], v[54:55], s[22:23], v[234:235]
	v_fma_f64 v[232:233], v[54:55], s[22:23], -v[234:235]
	v_fma_f64 v[234:235], v[54:55], s[26:27], v[242:243]
	v_mul_f64 v[97:98], v[82:83], s[24:25]
	v_mul_f64 v[172:173], v[46:47], s[28:29]
	;; [unrolled: 1-line block ×7, first 2 shown]
	v_add_f64 v[106:107], v[218:219], v[106:107]
	v_add_f64 v[108:109], v[156:157], v[108:109]
	;; [unrolled: 1-line block ×5, first 2 shown]
	v_fma_f64 v[242:243], v[54:55], s[2:3], v[246:247]
	v_fma_f64 v[54:55], v[54:55], s[2:3], -v[246:247]
	v_mul_f64 v[154:155], v[82:83], s[14:15]
	v_mul_f64 v[124:125], v[82:83], s[38:39]
	;; [unrolled: 1-line block ×5, first 2 shown]
	v_add_f64 v[148:149], v[210:211], v[148:149]
	v_add_f64 v[32:33], v[36:37], v[32:33]
	;; [unrolled: 1-line block ×3, first 2 shown]
	v_mul_f64 v[138:139], v[42:43], s[22:23]
	v_add_f64 v[34:35], v[38:39], v[34:35]
	v_mul_f64 v[210:211], v[42:43], s[28:29]
	v_add_f64 v[120:121], v[142:143], v[120:121]
	v_add_f64 v[114:115], v[114:115], v[170:171]
	;; [unrolled: 1-line block ×3, first 2 shown]
	v_mul_f64 v[142:143], v[42:43], s[16:17]
	v_add_f64 v[93:94], v[176:177], v[93:94]
	v_add_f64 v[86:87], v[86:87], v[150:151]
	;; [unrolled: 1-line block ×8, first 2 shown]
	v_mul_f64 v[160:161], v[40:41], s[30:31]
	v_fma_f64 v[224:225], v[146:147], s[22:23], v[97:98]
	v_fma_f64 v[216:217], v[44:45], s[40:41], v[172:173]
	;; [unrolled: 1-line block ×10, first 2 shown]
	v_fma_f64 v[97:98], v[146:147], s[22:23], -v[97:98]
	v_fma_f64 v[134:135], v[44:45], s[24:25], v[134:135]
	v_fma_f64 v[176:177], v[44:45], s[36:37], v[46:47]
	;; [unrolled: 1-line block ×3, first 2 shown]
	v_add_f64 v[105:106], v[190:191], v[106:107]
	v_add_f64 v[107:108], v[236:237], v[108:109]
	;; [unrolled: 1-line block ×5, first 2 shown]
	v_fma_f64 v[150:151], v[146:147], s[20:21], v[124:125]
	v_fma_f64 v[124:125], v[146:147], s[20:21], -v[124:125]
	v_add_f64 v[48:49], v[32:33], v[48:49]
	v_fma_f64 v[174:175], v[146:147], s[16:17], v[82:83]
	v_add_f64 v[50:51], v[34:35], v[50:51]
	v_fma_f64 v[82:83], v[146:147], s[16:17], -v[82:83]
	v_add_f64 v[46:47], v[208:209], v[180:181]
	v_add_f64 v[116:117], v[128:129], v[148:149]
	;; [unrolled: 1-line block ×6, first 2 shown]
	v_mul_f64 v[168:169], v[42:43], s[26:27]
	v_mul_f64 v[192:193], v[40:41], s[24:25]
	;; [unrolled: 1-line block ×3, first 2 shown]
	v_add_f64 v[204:205], v[212:213], v[250:251]
	v_mul_f64 v[212:213], v[40:41], s[34:35]
	v_mul_f64 v[38:39], v[42:43], s[2:3]
	;; [unrolled: 1-line block ×5, first 2 shown]
	v_fma_f64 v[214:215], v[146:147], s[28:29], v[154:155]
	v_fma_f64 v[154:155], v[146:147], s[28:29], -v[154:155]
	v_fma_f64 v[156:157], v[146:147], s[26:27], v[132:133]
	v_fma_f64 v[132:133], v[146:147], s[26:27], -v[132:133]
	v_fma_f64 v[34:35], v[30:31], s[44:45], v[138:139]
	v_add_f64 v[99:100], v[122:123], v[99:100]
	v_add_f64 v[84:85], v[226:227], v[84:85]
	;; [unrolled: 1-line block ×6, first 2 shown]
	v_fma_f64 v[93:94], v[30:31], s[24:25], v[138:139]
	v_add_f64 v[89:90], v[68:69], v[89:90]
	v_add_f64 v[101:102], v[218:219], v[101:102]
	;; [unrolled: 1-line block ×5, first 2 shown]
	scratch_load_b64 v[44:45], off, off offset:140 ; 8-byte Folded Reload
	v_add_f64 v[103:104], v[124:125], v[103:104]
	v_add_f64 v[48:49], v[48:49], v[52:53]
	v_fma_f64 v[124:125], v[30:31], s[18:19], v[142:143]
	v_add_f64 v[50:51], v[50:51], v[62:63]
	v_fma_f64 v[220:221], v[146:147], s[2:3], v[184:185]
	v_add_f64 v[46:47], v[64:65], v[46:47]
	v_add_f64 v[116:117], v[126:127], v[116:117]
	;; [unrolled: 1-line block ×5, first 2 shown]
	v_fma_f64 v[54:55], v[30:31], s[14:15], v[210:211]
	v_add_f64 v[72:73], v[72:73], v[162:163]
	v_add_f64 v[78:79], v[118:119], v[78:79]
	;; [unrolled: 1-line block ×4, first 2 shown]
	v_fma_f64 v[184:185], v[146:147], s[2:3], -v[184:185]
	v_fma_f64 v[152:153], v[30:31], s[12:13], v[38:39]
	v_fma_f64 v[126:127], v[30:31], s[34:35], v[38:39]
	;; [unrolled: 1-line block ×4, first 2 shown]
	v_add_f64 v[120:121], v[232:233], v[120:121]
	v_fma_f64 v[36:37], v[28:29], s[22:23], v[192:193]
	v_fma_f64 v[180:181], v[30:31], s[42:43], v[168:169]
	;; [unrolled: 1-line block ×4, first 2 shown]
	v_add_f64 v[99:100], v[170:171], v[99:100]
	v_add_f64 v[80:81], v[156:157], v[84:85]
	v_add_f64 v[84:85], v[222:223], v[86:87]
	v_add_f64 v[86:87], v[132:133], v[105:106]
	v_add_f64 v[56:57], v[95:96], v[122:123]
	v_add_f64 v[95:96], v[224:225], v[114:115]
	v_add_f64 v[105:106], v[144:145], v[107:108]
	v_add_f64 v[107:108], v[174:175], v[91:92]
	v_fma_f64 v[113:114], v[28:29], s[20:21], -v[40:41]
	v_fma_f64 v[122:123], v[30:31], s[38:39], v[42:43]
	v_add_f64 v[40:41], v[154:155], v[89:90]
	v_fma_f64 v[42:43], v[28:29], s[26:27], -v[160:161]
	v_add_f64 v[38:39], v[34:35], v[101:102]
	v_fma_f64 v[146:147], v[28:29], s[26:27], v[160:161]
	v_fma_f64 v[148:149], v[28:29], s[2:3], v[212:213]
	v_fma_f64 v[158:159], v[28:29], s[2:3], -v[212:213]
	v_fma_f64 v[162:163], v[28:29], s[16:17], v[140:141]
	v_fma_f64 v[178:179], v[30:31], s[36:37], v[142:143]
	v_add_f64 v[46:47], v[172:173], v[46:47]
	v_add_f64 v[34:35], v[93:94], v[116:117]
	v_fma_f64 v[140:141], v[28:29], s[16:17], -v[140:141]
	v_add_f64 v[92:93], v[124:125], v[68:69]
	v_fma_f64 v[138:139], v[28:29], s[28:29], -v[194:195]
	v_add_f64 v[68:69], v[54:55], v[52:53]
	scratch_load_b64 v[52:53], off, off offset:132 ; 8-byte Folded Reload
	s_waitcnt vmcnt(0)
	s_waitcnt_vscnt null, 0x0
	s_barrier
	buffer_gl0_inv
	v_add_f64 v[72:73], v[150:151], v[72:73]
	v_add_f64 v[70:71], v[216:217], v[70:71]
	;; [unrolled: 1-line block ×4, first 2 shown]
	v_fma_f64 v[32:33], v[28:29], s[22:23], -v[192:193]
	v_add_f64 v[120:121], v[184:185], v[120:121]
	v_add_f64 v[48:49], v[48:49], v[66:67]
	;; [unrolled: 1-line block ×18, first 2 shown]
	v_fma_f64 v[44:45], v[30:31], s[30:31], v[168:169]
	v_add_f64 v[30:31], v[180:181], v[70:71]
	v_add_f64 v[70:71], v[130:131], v[118:119]
	;; [unrolled: 1-line block ×6, first 2 shown]
	scratch_load_b32 v44, off, off offset:624 ; 4-byte Folded Reload
	v_add_f64 v[50:51], v[50:51], v[52:53]
	s_waitcnt vmcnt(0)
	ds_store_b128 v44, v[36:39] offset:128
	ds_store_b128 v44, v[70:73] offset:192
	;; [unrolled: 1-line block ×10, first 2 shown]
	ds_store_b128 v44, v[48:51]
	ds_store_b128 v44, v[28:31] offset:64
	ds_store_b128 v44, v[40:43] offset:768
	s_and_saveexec_b32 s1, s0
	s_cbranch_execz .LBB0_29
; %bb.28:
	scratch_load_b128 v[32:35], off, off offset:84 ; 16-byte Folded Reload
	v_mul_f64 v[28:29], v[60:61], v[18:19]
	s_delay_alu instid0(VALU_DEP_1) | instskip(SKIP_1) | instid1(VALU_DEP_1)
	v_fma_f64 v[28:29], v[58:59], v[16:17], v[28:29]
	v_mul_f64 v[16:17], v[60:61], v[16:17]
	v_fma_f64 v[30:31], v[58:59], v[18:19], -v[16:17]
	s_waitcnt vmcnt(0)
	v_mul_f64 v[16:17], v[34:35], v[26:27]
	v_mul_f64 v[18:19], v[34:35], v[24:25]
	s_delay_alu instid0(VALU_DEP_2) | instskip(NEXT) | instid1(VALU_DEP_2)
	v_fma_f64 v[16:17], v[32:33], v[24:25], v[16:17]
	v_fma_f64 v[18:19], v[32:33], v[26:27], -v[18:19]
	scratch_load_b128 v[32:35], off, off offset:52 ; 16-byte Folded Reload
	v_add_f64 v[147:148], v[28:29], -v[16:17]
	v_add_f64 v[153:154], v[30:31], -v[18:19]
	v_add_f64 v[149:150], v[30:31], v[18:19]
	v_add_f64 v[155:156], v[28:29], v[16:17]
	s_delay_alu instid0(VALU_DEP_4) | instskip(NEXT) | instid1(VALU_DEP_4)
	v_mul_f64 v[151:152], v[147:148], s[38:39]
	v_mul_f64 v[157:158], v[153:154], s[38:39]
	;; [unrolled: 1-line block ×8, first 2 shown]
	s_waitcnt vmcnt(0)
	v_mul_f64 v[24:25], v[34:35], v[14:15]
	s_delay_alu instid0(VALU_DEP_1) | instskip(SKIP_1) | instid1(VALU_DEP_1)
	v_fma_f64 v[24:25], v[32:33], v[12:13], v[24:25]
	v_mul_f64 v[12:13], v[34:35], v[12:13]
	v_fma_f64 v[26:27], v[32:33], v[14:15], -v[12:13]
	scratch_load_b128 v[32:35], off, off offset:68 ; 16-byte Folded Reload
	s_waitcnt vmcnt(0)
	v_mul_f64 v[12:13], v[34:35], v[22:23]
	v_mul_f64 v[14:15], v[34:35], v[20:21]
	s_delay_alu instid0(VALU_DEP_2) | instskip(NEXT) | instid1(VALU_DEP_2)
	v_fma_f64 v[12:13], v[32:33], v[20:21], v[12:13]
	v_fma_f64 v[14:15], v[32:33], v[22:23], -v[14:15]
	scratch_load_b128 v[32:35], off, off offset:676 ; 16-byte Folded Reload
	v_add_f64 v[139:140], v[24:25], -v[12:13]
	v_add_f64 v[141:142], v[26:27], v[14:15]
	v_add_f64 v[143:144], v[26:27], -v[14:15]
	v_add_f64 v[145:146], v[24:25], v[12:13]
	s_delay_alu instid0(VALU_DEP_4) | instskip(SKIP_1) | instid1(VALU_DEP_4)
	v_mul_f64 v[175:176], v[139:140], s[38:39]
	v_mul_f64 v[191:192], v[139:140], s[12:13]
	;; [unrolled: 1-line block ×4, first 2 shown]
	s_waitcnt vmcnt(0)
	v_mul_f64 v[20:21], v[34:35], v[2:3]
	s_delay_alu instid0(VALU_DEP_1) | instskip(SKIP_1) | instid1(VALU_DEP_1)
	v_fma_f64 v[44:45], v[32:33], v[0:1], v[20:21]
	v_mul_f64 v[0:1], v[34:35], v[0:1]
	v_fma_f64 v[46:47], v[32:33], v[2:3], -v[0:1]
	scratch_load_b128 v[32:35], off, off offset:20 ; 16-byte Folded Reload
	s_waitcnt vmcnt(0)
	v_mul_f64 v[0:1], v[34:35], v[10:11]
	s_delay_alu instid0(VALU_DEP_1) | instskip(SKIP_1) | instid1(VALU_DEP_1)
	v_fma_f64 v[20:21], v[32:33], v[8:9], v[0:1]
	v_mul_f64 v[0:1], v[34:35], v[8:9]
	v_fma_f64 v[22:23], v[32:33], v[10:11], -v[0:1]
	s_clause 0x1
	scratch_load_b128 v[32:35], off, off offset:164
	scratch_load_b128 v[36:39], off, off offset:36
	s_waitcnt vmcnt(0)
	v_mul_f64 v[0:1], v[38:39], v[34:35]
	s_delay_alu instid0(VALU_DEP_1) | instskip(SKIP_1) | instid1(VALU_DEP_2)
	v_fma_f64 v[8:9], v[36:37], v[32:33], v[0:1]
	v_mul_f64 v[0:1], v[38:39], v[32:33]
	v_add_f64 v[131:132], v[20:21], -v[8:9]
	s_delay_alu instid0(VALU_DEP_2)
	v_fma_f64 v[10:11], v[36:37], v[34:35], -v[0:1]
	scratch_load_b128 v[34:37], off, off offset:692 ; 16-byte Folded Reload
	v_add_f64 v[137:138], v[20:21], v[8:9]
	v_mul_f64 v[171:172], v[131:132], s[40:41]
	v_add_f64 v[133:134], v[22:23], v[10:11]
	v_add_f64 v[135:136], v[22:23], -v[10:11]
	v_mul_f64 v[187:188], v[131:132], s[24:25]
	s_delay_alu instid0(VALU_DEP_2) | instskip(SKIP_3) | instid1(VALU_DEP_1)
	v_mul_f64 v[173:174], v[135:136], s[40:41]
	v_mul_f64 v[189:190], v[135:136], s[24:25]
	s_waitcnt vmcnt(0)
	v_mul_f64 v[0:1], v[36:37], v[6:7]
	v_fma_f64 v[32:33], v[34:35], v[4:5], v[0:1]
	v_mul_f64 v[0:1], v[36:37], v[4:5]
	s_clause 0x1
	scratch_load_b128 v[36:39], off, off offset:148
	scratch_load_b128 v[40:43], off, off offset:708
	v_fma_f64 v[34:35], v[34:35], v[6:7], -v[0:1]
	s_waitcnt vmcnt(0)
	v_mul_f64 v[0:1], v[42:43], v[38:39]
	s_delay_alu instid0(VALU_DEP_1) | instskip(SKIP_1) | instid1(VALU_DEP_2)
	v_fma_f64 v[4:5], v[40:41], v[36:37], v[0:1]
	v_mul_f64 v[0:1], v[42:43], v[36:37]
	v_add_f64 v[129:130], v[32:33], v[4:5]
	s_delay_alu instid0(VALU_DEP_2) | instskip(SKIP_2) | instid1(VALU_DEP_1)
	v_fma_f64 v[6:7], v[40:41], v[38:39], -v[0:1]
	scratch_load_b128 v[38:41], off, off offset:180 ; 16-byte Folded Reload
	v_add_f64 v[127:128], v[34:35], -v[6:7]
	v_mul_f64 v[169:170], v[127:128], s[30:31]
	v_mul_f64 v[185:186], v[127:128], s[36:37]
	s_waitcnt vmcnt(0)
	v_mul_f64 v[0:1], v[40:41], v[254:255]
	s_delay_alu instid0(VALU_DEP_1)
	v_fma_f64 v[36:37], v[38:39], v[252:253], v[0:1]
	v_mul_f64 v[0:1], v[40:41], v[252:253]
	s_clause 0x3
	scratch_load_b128 v[40:43], off, off offset:116
	scratch_load_b128 v[48:51], off, off offset:660
	;; [unrolled: 1-line block ×4, first 2 shown]
	v_fma_f64 v[38:39], v[38:39], v[254:255], -v[0:1]
	s_waitcnt vmcnt(2)
	v_mul_f64 v[0:1], v[50:51], v[42:43]
	v_mul_f64 v[2:3], v[50:51], v[40:41]
	s_delay_alu instid0(VALU_DEP_2) | instskip(SKIP_2) | instid1(VALU_DEP_3)
	v_fma_f64 v[0:1], v[48:49], v[40:41], v[0:1]
	s_waitcnt vmcnt(0)
	v_mul_f64 v[40:41], v[58:59], v[54:55]
	v_fma_f64 v[2:3], v[48:49], v[42:43], -v[2:3]
	v_mul_f64 v[42:43], v[58:59], v[52:53]
	s_delay_alu instid0(VALU_DEP_4) | instskip(NEXT) | instid1(VALU_DEP_4)
	v_add_f64 v[48:49], v[44:45], -v[0:1]
	v_fma_f64 v[40:41], v[56:57], v[52:53], v[40:41]
	s_delay_alu instid0(VALU_DEP_4) | instskip(NEXT) | instid1(VALU_DEP_4)
	v_add_f64 v[50:51], v[46:47], v[2:3]
	v_fma_f64 v[42:43], v[56:57], v[54:55], -v[42:43]
	v_add_f64 v[84:85], v[44:45], v[0:1]
	v_mul_f64 v[52:53], v[48:49], s[30:31]
	v_mul_f64 v[54:55], v[48:49], s[14:15]
	;; [unrolled: 1-line block ×6, first 2 shown]
	v_add_f64 v[123:124], v[36:37], -v[40:41]
	v_add_f64 v[125:126], v[38:39], -v[42:43]
	v_fma_f64 v[62:63], v[50:51], s[26:27], v[52:53]
	v_fma_f64 v[52:53], v[50:51], s[26:27], -v[52:53]
	v_fma_f64 v[66:67], v[50:51], s[16:17], v[56:57]
	v_fma_f64 v[64:65], v[50:51], s[28:29], v[54:55]
	v_fma_f64 v[54:55], v[50:51], s[28:29], -v[54:55]
	v_fma_f64 v[72:73], v[50:51], s[22:23], v[48:49]
	v_fma_f64 v[74:75], v[50:51], s[22:23], -v[48:49]
	v_add_f64 v[48:49], v[46:47], -v[2:3]
	v_fma_f64 v[56:57], v[50:51], s[16:17], -v[56:57]
	v_fma_f64 v[68:69], v[50:51], s[20:21], v[58:59]
	v_fma_f64 v[58:59], v[50:51], s[20:21], -v[58:59]
	v_fma_f64 v[70:71], v[50:51], s[2:3], v[60:61]
	v_fma_f64 v[60:61], v[50:51], s[2:3], -v[60:61]
	v_mul_f64 v[183:184], v[125:126], s[30:31]
	v_add_f64 v[62:63], v[166:167], v[62:63]
	v_add_f64 v[101:102], v[166:167], v[52:53]
	;; [unrolled: 1-line block ×4, first 2 shown]
	v_mul_f64 v[66:67], v[123:124], s[24:25]
	v_add_f64 v[103:104], v[166:167], v[64:65]
	v_add_f64 v[105:106], v[166:167], v[54:55]
	v_mul_f64 v[80:81], v[48:49], s[10:11]
	v_mul_f64 v[50:51], v[48:49], s[30:31]
	v_add_f64 v[109:110], v[166:167], v[56:57]
	v_add_f64 v[113:114], v[166:167], v[68:69]
	v_mul_f64 v[68:69], v[125:126], s[24:25]
	v_add_f64 v[119:120], v[166:167], v[70:71]
	v_mul_f64 v[82:83], v[48:49], s[12:13]
	v_mul_f64 v[78:79], v[48:49], s[18:19]
	;; [unrolled: 1-line block ×4, first 2 shown]
	v_fma_f64 v[56:57], v[52:53], s[22:23], v[66:67]
	v_fma_f64 v[66:67], v[52:53], s[22:23], -v[66:67]
	v_fma_f64 v[95:96], v[84:85], s[20:21], -v[80:81]
	v_fma_f64 v[86:87], v[84:85], s[26:27], -v[50:51]
	v_fma_f64 v[89:90], v[84:85], s[26:27], v[50:51]
	v_add_f64 v[50:51], v[164:165], v[44:45]
	v_add_f64 v[44:45], v[166:167], v[72:73]
	v_fma_f64 v[80:81], v[84:85], s[20:21], v[80:81]
	v_fma_f64 v[97:98], v[84:85], s[2:3], -v[82:83]
	v_fma_f64 v[93:94], v[84:85], s[16:17], -v[78:79]
	v_fma_f64 v[78:79], v[84:85], s[16:17], v[78:79]
	v_fma_f64 v[91:92], v[84:85], s[28:29], -v[76:77]
	v_fma_f64 v[76:77], v[84:85], s[28:29], v[76:77]
	v_fma_f64 v[82:83], v[84:85], s[2:3], v[82:83]
	v_fma_f64 v[99:100], v[84:85], s[22:23], -v[48:49]
	v_fma_f64 v[84:85], v[84:85], s[22:23], v[48:49]
	v_add_f64 v[48:49], v[166:167], v[46:47]
	v_add_f64 v[62:63], v[56:57], v[62:63]
	;; [unrolled: 1-line block ×19, first 2 shown]
	v_mul_f64 v[163:164], v[123:124], s[18:19]
	v_mul_f64 v[165:166], v[125:126], s[18:19]
	v_add_f64 v[36:37], v[50:51], v[36:37]
	v_add_f64 v[38:39], v[48:49], v[38:39]
	v_fma_f64 v[56:57], v[58:59], s[22:23], -v[68:69]
	v_fma_f64 v[68:69], v[58:59], s[22:23], v[68:69]
	s_delay_alu instid0(VALU_DEP_2) | instskip(SKIP_2) | instid1(VALU_DEP_4)
	v_add_f64 v[64:65], v[56:57], v[86:87]
	v_add_f64 v[86:87], v[32:33], -v[4:5]
	v_add_f64 v[56:57], v[34:35], v[6:7]
	v_add_f64 v[68:69], v[68:69], v[89:90]
	;; [unrolled: 1-line block ×4, first 2 shown]
	v_mul_f64 v[70:71], v[86:87], s[14:15]
	v_mul_f64 v[167:168], v[86:87], s[30:31]
	s_delay_alu instid0(VALU_DEP_4) | instskip(NEXT) | instid1(VALU_DEP_4)
	v_add_f64 v[20:21], v[32:33], v[20:21]
	v_add_f64 v[22:23], v[34:35], v[22:23]
	v_mul_f64 v[32:33], v[123:124], s[12:13]
	v_fma_f64 v[72:73], v[56:57], s[28:29], v[70:71]
	v_fma_f64 v[70:71], v[56:57], s[28:29], -v[70:71]
	v_add_f64 v[20:21], v[20:21], v[24:25]
	v_add_f64 v[22:23], v[22:23], v[26:27]
	v_mul_f64 v[24:25], v[125:126], s[12:13]
	v_fma_f64 v[34:35], v[52:53], s[2:3], -v[32:33]
	v_add_f64 v[62:63], v[72:73], v[62:63]
	v_mul_f64 v[72:73], v[127:128], s[14:15]
	v_add_f64 v[66:67], v[70:71], v[66:67]
	v_add_f64 v[20:21], v[20:21], v[28:29]
	;; [unrolled: 1-line block ×3, first 2 shown]
	v_mul_f64 v[28:29], v[86:87], s[10:11]
	v_fma_f64 v[26:27], v[58:59], s[2:3], v[24:25]
	v_add_f64 v[34:35], v[34:35], v[60:61]
	v_fma_f64 v[74:75], v[129:130], s[28:29], -v[72:73]
	v_fma_f64 v[70:71], v[129:130], s[28:29], v[72:73]
	v_fma_f64 v[72:73], v[155:156], s[20:21], v[157:158]
	v_add_f64 v[16:17], v[20:21], v[16:17]
	v_add_f64 v[18:19], v[22:23], v[18:19]
	v_mul_f64 v[20:21], v[127:128], s[10:11]
	v_add_f64 v[26:27], v[26:27], v[54:55]
	v_fma_f64 v[30:31], v[56:57], s[20:21], -v[28:29]
	v_add_f64 v[64:65], v[74:75], v[64:65]
	v_mul_f64 v[74:75], v[131:132], s[34:35]
	v_add_f64 v[68:69], v[70:71], v[68:69]
	v_add_f64 v[12:13], v[16:17], v[12:13]
	v_fma_f64 v[16:17], v[52:53], s[2:3], v[32:33]
	v_add_f64 v[14:15], v[18:19], v[14:15]
	v_fma_f64 v[18:19], v[58:59], s[2:3], -v[24:25]
	v_mul_f64 v[24:25], v[131:132], s[18:19]
	v_fma_f64 v[22:23], v[129:130], s[20:21], v[20:21]
	v_add_f64 v[30:31], v[30:31], v[34:35]
	v_fma_f64 v[78:79], v[133:134], s[2:3], v[74:75]
	v_fma_f64 v[70:71], v[133:134], s[2:3], -v[74:75]
	v_mul_f64 v[74:75], v[123:124], s[38:39]
	v_add_f64 v[8:9], v[12:13], v[8:9]
	v_fma_f64 v[12:13], v[56:57], s[20:21], v[28:29]
	v_add_f64 v[16:17], v[16:17], v[44:45]
	v_add_f64 v[10:11], v[14:15], v[10:11]
	v_fma_f64 v[14:15], v[129:130], s[20:21], -v[20:21]
	v_add_f64 v[18:19], v[18:19], v[46:47]
	v_mul_f64 v[20:21], v[135:136], s[18:19]
	v_add_f64 v[22:23], v[22:23], v[26:27]
	v_fma_f64 v[26:27], v[133:134], s[16:17], -v[24:25]
	v_add_f64 v[62:63], v[78:79], v[62:63]
	v_mul_f64 v[78:79], v[135:136], s[34:35]
	v_add_f64 v[66:67], v[70:71], v[66:67]
	v_add_f64 v[4:5], v[8:9], v[4:5]
	v_fma_f64 v[8:9], v[133:134], s[16:17], v[24:25]
	v_add_f64 v[12:13], v[12:13], v[16:17]
	v_mul_f64 v[16:17], v[139:140], s[14:15]
	v_add_f64 v[6:7], v[10:11], v[6:7]
	v_add_f64 v[14:15], v[14:15], v[18:19]
	v_fma_f64 v[28:29], v[137:138], s[16:17], v[20:21]
	v_fma_f64 v[10:11], v[137:138], s[16:17], -v[20:21]
	v_mul_f64 v[20:21], v[143:144], s[14:15]
	v_add_f64 v[26:27], v[26:27], v[30:31]
	v_fma_f64 v[80:81], v[137:138], s[2:3], -v[78:79]
	v_fma_f64 v[70:71], v[137:138], s[2:3], v[78:79]
	v_mul_f64 v[78:79], v[125:126], s[38:39]
	v_add_f64 v[8:9], v[8:9], v[12:13]
	v_fma_f64 v[18:19], v[141:142], s[28:29], -v[16:17]
	v_fma_f64 v[16:17], v[141:142], s[28:29], v[16:17]
	v_mul_f64 v[12:13], v[147:148], s[30:31]
	v_add_f64 v[22:23], v[28:29], v[22:23]
	v_add_f64 v[10:11], v[10:11], v[14:15]
	v_fma_f64 v[24:25], v[145:146], s[28:29], v[20:21]
	v_fma_f64 v[20:21], v[145:146], s[28:29], -v[20:21]
	v_mul_f64 v[28:29], v[153:154], s[30:31]
	v_add_f64 v[64:65], v[80:81], v[64:65]
	v_mul_f64 v[80:81], v[139:140], s[18:19]
	v_add_f64 v[68:69], v[70:71], v[68:69]
	v_add_f64 v[18:19], v[18:19], v[26:27]
	;; [unrolled: 1-line block ×3, first 2 shown]
	v_fma_f64 v[14:15], v[149:150], s[26:27], -v[12:13]
	v_fma_f64 v[12:13], v[149:150], s[26:27], v[12:13]
	v_add_f64 v[16:17], v[6:7], v[42:43]
	v_add_f64 v[22:23], v[24:25], v[22:23]
	;; [unrolled: 1-line block ×3, first 2 shown]
	v_fma_f64 v[30:31], v[155:156], s[26:27], v[28:29]
	v_add_f64 v[24:25], v[4:5], v[40:41]
	v_fma_f64 v[28:29], v[155:156], s[26:27], -v[28:29]
	v_fma_f64 v[84:85], v[141:142], s[16:17], v[80:81]
	v_fma_f64 v[70:71], v[141:142], s[16:17], -v[80:81]
	v_mul_f64 v[80:81], v[86:87], s[12:13]
	v_add_f64 v[6:7], v[14:15], v[18:19]
	v_add_f64 v[10:11], v[12:13], v[8:9]
	s_clause 0x1
	scratch_load_b32 v12, off, off offset:556
	scratch_load_b32 v13, off, off offset:532
	v_add_f64 v[2:3], v[16:17], v[2:3]
	v_add_f64 v[4:5], v[30:31], v[22:23]
	;; [unrolled: 1-line block ×5, first 2 shown]
	v_mul_f64 v[84:85], v[143:144], s[18:19]
	v_add_f64 v[66:67], v[70:71], v[66:67]
	s_delay_alu instid0(VALU_DEP_2) | instskip(SKIP_2) | instid1(VALU_DEP_3)
	v_fma_f64 v[70:71], v[145:146], s[16:17], v[84:85]
	v_fma_f64 v[99:100], v[145:146], s[16:17], -v[84:85]
	v_fma_f64 v[84:85], v[56:57], s[2:3], v[80:81]
	v_add_f64 v[70:71], v[70:71], v[68:69]
	v_fma_f64 v[68:69], v[149:150], s[20:21], -v[151:152]
	s_delay_alu instid0(VALU_DEP_4) | instskip(SKIP_2) | instid1(VALU_DEP_4)
	v_add_f64 v[99:100], v[99:100], v[64:65]
	v_fma_f64 v[64:65], v[149:150], s[20:21], v[151:152]
	v_mul_f64 v[151:152], v[147:148], s[18:19]
	v_add_f64 v[68:69], v[68:69], v[66:67]
	v_add_f64 v[66:67], v[72:73], v[70:71]
	v_fma_f64 v[70:71], v[52:53], s[20:21], v[74:75]
	v_fma_f64 v[72:73], v[58:59], s[20:21], -v[78:79]
	v_fma_f64 v[74:75], v[52:53], s[20:21], -v[74:75]
	v_fma_f64 v[78:79], v[58:59], s[20:21], v[78:79]
	v_add_f64 v[64:65], v[64:65], v[62:63]
	v_fma_f64 v[62:63], v[155:156], s[20:21], -v[157:158]
	v_mul_f64 v[157:158], v[153:154], s[18:19]
	v_add_f64 v[70:71], v[70:71], v[103:104]
	v_add_f64 v[72:73], v[72:73], v[91:92]
	;; [unrolled: 1-line block ×4, first 2 shown]
	v_fma_f64 v[78:79], v[56:57], s[2:3], -v[80:81]
	v_add_f64 v[62:63], v[62:63], v[99:100]
	v_fma_f64 v[80:81], v[155:156], s[16:17], v[157:158]
	v_mul_f64 v[105:106], v[131:132], s[10:11]
	v_add_f64 v[70:71], v[84:85], v[70:71]
	v_mul_f64 v[84:85], v[127:128], s[12:13]
	v_add_f64 v[74:75], v[78:79], v[74:75]
	s_delay_alu instid0(VALU_DEP_2) | instskip(SKIP_1) | instid1(VALU_DEP_2)
	v_fma_f64 v[89:90], v[129:130], s[2:3], -v[84:85]
	v_fma_f64 v[78:79], v[129:130], s[2:3], v[84:85]
	v_add_f64 v[72:73], v[89:90], v[72:73]
	v_mul_f64 v[89:90], v[131:132], s[42:43]
	s_delay_alu instid0(VALU_DEP_3) | instskip(SKIP_3) | instid1(VALU_DEP_1)
	v_add_f64 v[76:77], v[78:79], v[76:77]
	s_waitcnt vmcnt(1)
	v_mul_u32_u24_e32 v12, 52, v12
	s_waitcnt vmcnt(0)
	v_or_b32_e32 v12, v12, v13
	s_delay_alu instid0(VALU_DEP_1) | instskip(SKIP_3) | instid1(VALU_DEP_3)
	v_lshlrev_b32_e32 v12, 4, v12
	v_fma_f64 v[91:92], v[133:134], s[26:27], v[89:90]
	v_fma_f64 v[78:79], v[133:134], s[26:27], -v[89:90]
	v_fma_f64 v[89:90], v[58:59], s[16:17], v[165:166]
	v_add_f64 v[70:71], v[91:92], v[70:71]
	v_mul_f64 v[91:92], v[135:136], s[42:43]
	s_delay_alu instid0(VALU_DEP_4) | instskip(NEXT) | instid1(VALU_DEP_4)
	v_add_f64 v[74:75], v[78:79], v[74:75]
	v_add_f64 v[82:83], v[89:90], v[82:83]
	v_fma_f64 v[89:90], v[56:57], s[26:27], -v[167:168]
	s_delay_alu instid0(VALU_DEP_4) | instskip(SKIP_2) | instid1(VALU_DEP_3)
	v_fma_f64 v[99:100], v[137:138], s[26:27], -v[91:92]
	v_fma_f64 v[78:79], v[137:138], s[26:27], v[91:92]
	v_fma_f64 v[91:92], v[58:59], s[26:27], v[183:184]
	v_add_f64 v[72:73], v[99:100], v[72:73]
	v_mul_f64 v[99:100], v[139:140], s[24:25]
	s_delay_alu instid0(VALU_DEP_4) | instskip(NEXT) | instid1(VALU_DEP_4)
	v_add_f64 v[76:77], v[78:79], v[76:77]
	v_add_f64 v[91:92], v[91:92], v[117:118]
	v_mul_f64 v[117:118], v[86:87], s[36:37]
	s_delay_alu instid0(VALU_DEP_4) | instskip(SKIP_2) | instid1(VALU_DEP_3)
	v_fma_f64 v[101:102], v[141:142], s[22:23], v[99:100]
	v_fma_f64 v[78:79], v[141:142], s[22:23], -v[99:100]
	v_mul_f64 v[99:100], v[123:124], s[40:41]
	v_add_f64 v[70:71], v[101:102], v[70:71]
	v_mul_f64 v[101:102], v[143:144], s[24:25]
	s_delay_alu instid0(VALU_DEP_4) | instskip(NEXT) | instid1(VALU_DEP_2)
	v_add_f64 v[74:75], v[78:79], v[74:75]
	v_fma_f64 v[78:79], v[145:146], s[22:23], v[101:102]
	v_fma_f64 v[103:104], v[145:146], s[22:23], -v[101:102]
	v_mul_f64 v[101:102], v[125:126], s[40:41]
	s_delay_alu instid0(VALU_DEP_3) | instskip(SKIP_1) | instid1(VALU_DEP_4)
	v_add_f64 v[78:79], v[78:79], v[76:77]
	v_fma_f64 v[76:77], v[149:150], s[16:17], -v[151:152]
	v_add_f64 v[103:104], v[103:104], v[72:73]
	v_fma_f64 v[72:73], v[149:150], s[16:17], v[151:152]
	v_mul_f64 v[151:152], v[139:140], s[42:43]
	s_delay_alu instid0(VALU_DEP_4)
	v_add_f64 v[76:77], v[76:77], v[74:75]
	v_add_f64 v[74:75], v[80:81], v[78:79]
	v_fma_f64 v[80:81], v[58:59], s[28:29], -v[101:102]
	v_add_f64 v[72:73], v[72:73], v[70:71]
	v_fma_f64 v[70:71], v[155:156], s[16:17], -v[157:158]
	v_fma_f64 v[78:79], v[52:53], s[28:29], v[99:100]
	v_mul_f64 v[157:158], v[143:144], s[42:43]
	v_add_f64 v[80:81], v[80:81], v[93:94]
	v_mul_f64 v[93:94], v[86:87], s[24:25]
	v_add_f64 v[70:71], v[70:71], v[103:104]
	v_add_f64 v[78:79], v[78:79], v[107:108]
	v_mul_f64 v[103:104], v[127:128], s[24:25]
	v_mul_f64 v[107:108], v[135:136], s[10:11]
	v_fma_f64 v[84:85], v[56:57], s[22:23], v[93:94]
	v_fma_f64 v[93:94], v[56:57], s[22:23], -v[93:94]
	s_delay_alu instid0(VALU_DEP_2) | instskip(SKIP_1) | instid1(VALU_DEP_1)
	v_add_f64 v[78:79], v[84:85], v[78:79]
	v_fma_f64 v[84:85], v[129:130], s[22:23], -v[103:104]
	v_add_f64 v[80:81], v[84:85], v[80:81]
	v_fma_f64 v[84:85], v[133:134], s[20:21], v[105:106]
	s_delay_alu instid0(VALU_DEP_1) | instskip(SKIP_1) | instid1(VALU_DEP_1)
	v_add_f64 v[78:79], v[84:85], v[78:79]
	v_fma_f64 v[84:85], v[137:138], s[20:21], -v[107:108]
	v_add_f64 v[80:81], v[84:85], v[80:81]
	v_fma_f64 v[84:85], v[141:142], s[26:27], v[151:152]
	s_delay_alu instid0(VALU_DEP_1) | instskip(SKIP_1) | instid1(VALU_DEP_1)
	;; [unrolled: 5-line block ×3, first 2 shown]
	v_add_f64 v[80:81], v[80:81], v[78:79]
	v_fma_f64 v[78:79], v[155:156], s[2:3], -v[161:162]
	v_add_f64 v[78:79], v[78:79], v[84:85]
	v_fma_f64 v[84:85], v[52:53], s[16:17], -v[163:164]
	s_delay_alu instid0(VALU_DEP_1) | instskip(SKIP_1) | instid1(VALU_DEP_2)
	v_add_f64 v[84:85], v[84:85], v[97:98]
	v_mul_f64 v[97:98], v[123:124], s[30:31]
	v_add_f64 v[84:85], v[89:90], v[84:85]
	v_fma_f64 v[89:90], v[129:130], s[26:27], v[169:170]
	s_delay_alu instid0(VALU_DEP_1) | instskip(SKIP_1) | instid1(VALU_DEP_1)
	v_add_f64 v[82:83], v[89:90], v[82:83]
	v_fma_f64 v[89:90], v[133:134], s[28:29], -v[171:172]
	v_add_f64 v[84:85], v[89:90], v[84:85]
	v_fma_f64 v[89:90], v[137:138], s[28:29], v[173:174]
	s_delay_alu instid0(VALU_DEP_1) | instskip(SKIP_1) | instid1(VALU_DEP_1)
	v_add_f64 v[82:83], v[89:90], v[82:83]
	v_fma_f64 v[89:90], v[141:142], s[20:21], -v[175:176]
	;; [unrolled: 5-line block ×3, first 2 shown]
	v_add_f64 v[84:85], v[89:90], v[84:85]
	v_fma_f64 v[89:90], v[155:156], s[22:23], v[181:182]
	s_delay_alu instid0(VALU_DEP_1) | instskip(SKIP_2) | instid1(VALU_DEP_2)
	v_add_f64 v[82:83], v[89:90], v[82:83]
	v_fma_f64 v[89:90], v[52:53], s[26:27], -v[97:98]
	v_fma_f64 v[97:98], v[52:53], s[26:27], v[97:98]
	v_add_f64 v[89:90], v[89:90], v[95:96]
	v_fma_f64 v[95:96], v[56:57], s[16:17], -v[117:118]
	s_delay_alu instid0(VALU_DEP_3) | instskip(NEXT) | instid1(VALU_DEP_2)
	v_add_f64 v[97:98], v[97:98], v[113:114]
	v_add_f64 v[89:90], v[95:96], v[89:90]
	v_fma_f64 v[95:96], v[129:130], s[16:17], v[185:186]
	s_delay_alu instid0(VALU_DEP_1) | instskip(SKIP_1) | instid1(VALU_DEP_1)
	v_add_f64 v[91:92], v[95:96], v[91:92]
	v_fma_f64 v[95:96], v[133:134], s[22:23], -v[187:188]
	v_add_f64 v[89:90], v[95:96], v[89:90]
	v_fma_f64 v[95:96], v[137:138], s[22:23], v[189:190]
	s_delay_alu instid0(VALU_DEP_1) | instskip(SKIP_1) | instid1(VALU_DEP_1)
	v_add_f64 v[91:92], v[95:96], v[91:92]
	v_fma_f64 v[95:96], v[141:142], s[2:3], -v[191:192]
	;; [unrolled: 5-line block ×3, first 2 shown]
	v_add_f64 v[91:92], v[91:92], v[89:90]
	v_fma_f64 v[89:90], v[155:156], s[28:29], v[206:207]
	s_delay_alu instid0(VALU_DEP_1) | instskip(SKIP_3) | instid1(VALU_DEP_3)
	v_add_f64 v[89:90], v[89:90], v[95:96]
	v_fma_f64 v[95:96], v[52:53], s[28:29], -v[99:100]
	v_fma_f64 v[99:100], v[58:59], s[28:29], v[101:102]
	v_fma_f64 v[101:102], v[155:156], s[2:3], v[161:162]
	v_add_f64 v[95:96], v[95:96], v[109:110]
	s_delay_alu instid0(VALU_DEP_3) | instskip(NEXT) | instid1(VALU_DEP_2)
	v_add_f64 v[99:100], v[99:100], v[111:112]
	v_add_f64 v[93:94], v[93:94], v[95:96]
	v_fma_f64 v[95:96], v[129:130], s[22:23], v[103:104]
	v_fma_f64 v[103:104], v[155:156], s[28:29], -v[206:207]
	s_delay_alu instid0(VALU_DEP_2) | instskip(SKIP_2) | instid1(VALU_DEP_2)
	v_add_f64 v[95:96], v[95:96], v[99:100]
	v_fma_f64 v[99:100], v[133:134], s[20:21], -v[105:106]
	v_fma_f64 v[105:106], v[56:57], s[26:27], v[167:168]
	v_add_f64 v[93:94], v[99:100], v[93:94]
	v_fma_f64 v[99:100], v[137:138], s[20:21], v[107:108]
	v_fma_f64 v[107:108], v[155:156], s[22:23], -v[181:182]
	s_delay_alu instid0(VALU_DEP_2) | instskip(SKIP_1) | instid1(VALU_DEP_1)
	v_add_f64 v[95:96], v[99:100], v[95:96]
	v_fma_f64 v[99:100], v[141:142], s[26:27], -v[151:152]
	v_add_f64 v[93:94], v[99:100], v[93:94]
	v_fma_f64 v[99:100], v[145:146], s[26:27], v[157:158]
	s_delay_alu instid0(VALU_DEP_1) | instskip(SKIP_1) | instid1(VALU_DEP_1)
	v_add_f64 v[99:100], v[99:100], v[95:96]
	v_fma_f64 v[95:96], v[149:150], s[2:3], -v[159:160]
	v_add_f64 v[95:96], v[95:96], v[93:94]
	s_delay_alu instid0(VALU_DEP_3) | instskip(SKIP_2) | instid1(VALU_DEP_2)
	v_add_f64 v[93:94], v[101:102], v[99:100]
	v_fma_f64 v[99:100], v[58:59], s[26:27], -v[183:184]
	v_fma_f64 v[101:102], v[56:57], s[16:17], v[117:118]
	v_add_f64 v[99:100], v[99:100], v[115:116]
	s_delay_alu instid0(VALU_DEP_2) | instskip(SKIP_1) | instid1(VALU_DEP_1)
	v_add_f64 v[97:98], v[101:102], v[97:98]
	v_fma_f64 v[101:102], v[129:130], s[16:17], -v[185:186]
	v_add_f64 v[99:100], v[101:102], v[99:100]
	v_fma_f64 v[101:102], v[133:134], s[22:23], v[187:188]
	s_delay_alu instid0(VALU_DEP_1) | instskip(SKIP_1) | instid1(VALU_DEP_1)
	v_add_f64 v[97:98], v[101:102], v[97:98]
	v_fma_f64 v[101:102], v[137:138], s[22:23], -v[189:190]
	v_add_f64 v[99:100], v[101:102], v[99:100]
	v_fma_f64 v[101:102], v[141:142], s[2:3], v[191:192]
	s_delay_alu instid0(VALU_DEP_1) | instskip(SKIP_1) | instid1(VALU_DEP_1)
	v_add_f64 v[97:98], v[101:102], v[97:98]
	v_fma_f64 v[101:102], v[145:146], s[2:3], -v[193:194]
	v_add_f64 v[101:102], v[101:102], v[99:100]
	v_fma_f64 v[99:100], v[149:150], s[28:29], v[204:205]
	s_delay_alu instid0(VALU_DEP_1) | instskip(NEXT) | instid1(VALU_DEP_3)
	v_add_f64 v[99:100], v[99:100], v[97:98]
	v_add_f64 v[97:98], v[103:104], v[101:102]
	v_fma_f64 v[101:102], v[52:53], s[16:17], v[163:164]
	v_fma_f64 v[103:104], v[58:59], s[16:17], -v[165:166]
	s_delay_alu instid0(VALU_DEP_2) | instskip(NEXT) | instid1(VALU_DEP_2)
	v_add_f64 v[101:102], v[101:102], v[119:120]
	v_add_f64 v[103:104], v[103:104], v[121:122]
	s_delay_alu instid0(VALU_DEP_2) | instskip(SKIP_1) | instid1(VALU_DEP_1)
	v_add_f64 v[101:102], v[105:106], v[101:102]
	v_fma_f64 v[105:106], v[129:130], s[26:27], -v[169:170]
	v_add_f64 v[103:104], v[105:106], v[103:104]
	v_fma_f64 v[105:106], v[133:134], s[28:29], v[171:172]
	s_delay_alu instid0(VALU_DEP_1) | instskip(SKIP_1) | instid1(VALU_DEP_1)
	v_add_f64 v[101:102], v[105:106], v[101:102]
	v_fma_f64 v[105:106], v[137:138], s[28:29], -v[173:174]
	v_add_f64 v[103:104], v[105:106], v[103:104]
	v_fma_f64 v[105:106], v[141:142], s[20:21], v[175:176]
	s_delay_alu instid0(VALU_DEP_1) | instskip(SKIP_1) | instid1(VALU_DEP_1)
	v_add_f64 v[101:102], v[105:106], v[101:102]
	v_fma_f64 v[105:106], v[145:146], s[20:21], -v[177:178]
	v_add_f64 v[105:106], v[105:106], v[103:104]
	v_fma_f64 v[103:104], v[149:150], s[22:23], v[179:180]
	s_delay_alu instid0(VALU_DEP_1) | instskip(NEXT) | instid1(VALU_DEP_3)
	v_add_f64 v[103:104], v[103:104], v[101:102]
	v_add_f64 v[101:102], v[107:108], v[105:106]
	ds_store_b128 v12, v[82:85] offset:128
	ds_store_b128 v12, v[89:92] offset:192
	;; [unrolled: 1-line block ×11, first 2 shown]
	ds_store_b128 v12, v[0:3]
	ds_store_b128 v12, v[8:11] offset:768
.LBB0_29:
	s_or_b32 exec_lo, exec_lo, s1
	s_waitcnt lgkmcnt(0)
	s_barrier
	buffer_gl0_inv
	ds_load_b128 v[4:7], v88 offset:2496
	ds_load_b128 v[8:11], v88 offset:3328
	ds_load_b128 v[0:3], v88 offset:1664
	ds_load_b128 v[12:15], v88 offset:4992
	scratch_load_b128 v[64:67], off, off offset:608 ; 16-byte Folded Reload
	ds_load_b128 v[16:19], v88 offset:5824
	ds_load_b128 v[20:23], v88 offset:4160
	scratch_load_b128 v[74:77], off, off offset:592 ; 16-byte Folded Reload
	ds_load_b128 v[24:27], v88 offset:7488
	ds_load_b128 v[28:31], v88 offset:8320
	;; [unrolled: 1-line block ×5, first 2 shown]
	s_mov_b32 s2, 0x37e14327
	s_mov_b32 s0, 0x36b3c0b5
	;; [unrolled: 1-line block ×16, first 2 shown]
	s_waitcnt lgkmcnt(2)
	v_mul_f64 v[68:69], v[198:199], v[34:35]
	v_mul_f64 v[60:61], v[202:203], v[26:27]
	;; [unrolled: 1-line block ×4, first 2 shown]
	s_waitcnt lgkmcnt(1)
	v_mul_f64 v[72:73], v[198:199], v[38:39]
	v_fma_f64 v[32:33], v[196:197], v[32:33], v[68:69]
	v_fma_f64 v[60:61], v[200:201], v[24:25], v[60:61]
	v_fma_f64 v[62:63], v[200:201], v[26:27], -v[62:63]
	v_fma_f64 v[34:35], v[196:197], v[34:35], -v[70:71]
	s_waitcnt vmcnt(1)
	v_mul_f64 v[44:45], v[66:67], v[6:7]
	v_mul_f64 v[46:47], v[66:67], v[4:5]
	;; [unrolled: 1-line block ×4, first 2 shown]
	s_waitcnt vmcnt(0)
	v_mul_f64 v[52:53], v[76:77], v[14:15]
	v_mul_f64 v[54:55], v[76:77], v[12:13]
	;; [unrolled: 1-line block ×5, first 2 shown]
	v_fma_f64 v[44:45], v[64:65], v[4:5], v[44:45]
	v_fma_f64 v[46:47], v[64:65], v[6:7], -v[46:47]
	v_fma_f64 v[48:49], v[64:65], v[8:9], v[48:49]
	v_fma_f64 v[50:51], v[64:65], v[10:11], -v[50:51]
	ds_load_b128 v[4:7], v88 offset:9152
	ds_load_b128 v[8:11], v88 offset:12480
	v_fma_f64 v[52:53], v[74:75], v[12:13], v[52:53]
	v_fma_f64 v[54:55], v[74:75], v[14:15], -v[54:55]
	v_fma_f64 v[56:57], v[74:75], v[16:17], v[56:57]
	v_fma_f64 v[58:59], v[74:75], v[18:19], -v[58:59]
	ds_load_b128 v[12:15], v88 offset:13312
	ds_load_b128 v[16:19], v88 offset:11648
	;; [unrolled: 1-line block ×3, first 2 shown]
	s_clause 0x2
	scratch_load_b128 v[78:81], off, off offset:576
	scratch_load_b128 v[82:85], off, off offset:560
	;; [unrolled: 1-line block ×3, first 2 shown]
	v_mul_f64 v[64:65], v[202:203], v[30:31]
	v_mul_f64 v[74:75], v[198:199], v[36:37]
	v_fma_f64 v[66:67], v[200:201], v[30:31], -v[66:67]
	v_fma_f64 v[36:37], v[196:197], v[36:37], v[72:73]
	s_clause 0x2
	scratch_load_b128 v[111:114], off, off offset:812
	scratch_load_b128 v[107:110], off, off offset:796
	;; [unrolled: 1-line block ×3, first 2 shown]
	v_fma_f64 v[64:65], v[200:201], v[28:29], v[64:65]
	ds_load_b128 v[28:31], v88 offset:14976
	v_fma_f64 v[38:39], v[196:197], v[38:39], -v[74:75]
	v_add_f64 v[101:102], v[64:65], v[36:37]
	v_add_f64 v[36:37], v[36:37], -v[64:65]
	s_delay_alu instid0(VALU_DEP_3)
	v_add_f64 v[64:65], v[38:39], -v[66:67]
	v_add_f64 v[38:39], v[66:67], v[38:39]
	s_waitcnt vmcnt(5) lgkmcnt(4)
	v_mul_f64 v[76:77], v[80:81], v[10:11]
	v_mul_f64 v[68:69], v[80:81], v[8:9]
	s_waitcnt lgkmcnt(3)
	v_mul_f64 v[70:71], v[80:81], v[14:15]
	v_mul_f64 v[72:73], v[80:81], v[12:13]
	s_waitcnt vmcnt(2) lgkmcnt(1)
	v_mul_f64 v[97:98], v[113:114], v[26:27]
	v_fma_f64 v[74:75], v[78:79], v[8:9], v[76:77]
	v_fma_f64 v[68:69], v[78:79], v[10:11], -v[68:69]
	ds_load_b128 v[8:11], v88 offset:15808
	s_waitcnt lgkmcnt(1)
	v_mul_f64 v[76:77], v[84:85], v[30:31]
	v_fma_f64 v[12:13], v[78:79], v[12:13], v[70:71]
	v_mul_f64 v[70:71], v[84:85], v[28:29]
	v_fma_f64 v[14:15], v[78:79], v[14:15], -v[72:73]
	s_waitcnt lgkmcnt(0)
	v_mul_f64 v[72:73], v[84:85], v[10:11]
	v_mul_f64 v[78:79], v[84:85], v[8:9]
	v_add_f64 v[86:87], v[52:53], v[74:75]
	v_add_f64 v[52:53], v[52:53], -v[74:75]
	v_mul_f64 v[74:75], v[113:114], v[24:25]
	v_fma_f64 v[28:29], v[82:83], v[28:29], v[76:77]
	v_mul_f64 v[76:77], v[91:92], v[20:21]
	v_fma_f64 v[30:31], v[82:83], v[30:31], -v[70:71]
	v_mul_f64 v[70:71], v[91:92], v[22:23]
	scratch_load_b128 v[91:94], off, off offset:844 ; 16-byte Folded Reload
	v_add_f64 v[99:100], v[58:59], v[14:15]
	v_add_f64 v[58:59], v[58:59], -v[14:15]
	v_fma_f64 v[24:25], v[111:112], v[24:25], v[97:98]
	v_fma_f64 v[72:73], v[82:83], v[8:9], v[72:73]
	v_fma_f64 v[78:79], v[82:83], v[10:11], -v[78:79]
	v_fma_f64 v[26:27], v[111:112], v[26:27], -v[74:75]
	;; [unrolled: 1-line block ×3, first 2 shown]
	v_add_f64 v[76:77], v[46:47], v[30:31]
	v_fma_f64 v[20:21], v[89:90], v[20:21], v[70:71]
	v_add_f64 v[70:71], v[44:45], v[28:29]
	v_add_f64 v[89:90], v[54:55], v[68:69]
	v_add_f64 v[54:55], v[54:55], -v[68:69]
	v_add_f64 v[28:29], v[44:45], -v[28:29]
	;; [unrolled: 1-line block ×3, first 2 shown]
	v_add_f64 v[46:47], v[56:57], v[12:13]
	v_add_f64 v[56:57], v[56:57], -v[12:13]
	v_add_f64 v[97:98], v[64:65], v[58:59]
	v_add_f64 v[44:45], v[48:49], v[72:73]
	s_waitcnt vmcnt(0)
	v_mul_f64 v[80:81], v[93:94], v[42:43]
	v_mul_f64 v[8:9], v[93:94], v[40:41]
	scratch_load_b128 v[93:96], off, off offset:860 ; 16-byte Folded Reload
	v_fma_f64 v[40:41], v[91:92], v[40:41], v[80:81]
	v_fma_f64 v[42:43], v[91:92], v[42:43], -v[8:9]
	ds_load_b128 v[8:11], v88 offset:16640
	v_add_f64 v[91:92], v[89:90], v[76:77]
	s_waitcnt lgkmcnt(0)
	v_mul_f64 v[68:69], v[109:110], v[10:11]
	s_delay_alu instid0(VALU_DEP_1) | instskip(SKIP_4) | instid1(VALU_DEP_3)
	v_fma_f64 v[68:69], v[107:108], v[8:9], v[68:69]
	s_waitcnt vmcnt(0)
	v_mul_f64 v[82:83], v[95:96], v[6:7]
	v_mul_f64 v[84:85], v[95:96], v[4:5]
	v_mul_f64 v[95:96], v[117:118], v[16:17]
	v_fma_f64 v[80:81], v[93:94], v[4:5], v[82:83]
	v_add_f64 v[4:5], v[60:61], v[32:33]
	s_delay_alu instid0(VALU_DEP_4)
	v_fma_f64 v[82:83], v[93:94], v[6:7], -v[84:85]
	v_add_f64 v[84:85], v[62:63], v[34:35]
	v_add_f64 v[32:33], v[32:33], -v[60:61]
	v_mul_f64 v[60:61], v[109:110], v[8:9]
	v_add_f64 v[34:35], v[34:35], -v[62:63]
	v_add_f64 v[62:63], v[50:51], v[78:79]
	v_add_f64 v[6:7], v[86:87], v[70:71]
	v_mul_f64 v[93:94], v[117:118], v[18:19]
	v_add_f64 v[8:9], v[48:49], -v[72:73]
	v_add_f64 v[48:49], v[50:51], -v[78:79]
	;; [unrolled: 1-line block ×3, first 2 shown]
	v_fma_f64 v[18:19], v[115:116], v[18:19], -v[95:96]
	v_add_f64 v[95:96], v[36:37], v[56:57]
	v_add_f64 v[66:67], v[70:71], -v[4:5]
	v_add_f64 v[105:106], v[4:5], -v[86:87]
	;; [unrolled: 1-line block ×4, first 2 shown]
	v_fma_f64 v[60:61], v[107:108], v[10:11], -v[60:61]
	v_add_f64 v[10:11], v[32:33], v[52:53]
	v_add_f64 v[50:51], v[34:35], v[54:55]
	v_add_f64 v[76:77], v[84:85], -v[89:90]
	v_add_f64 v[78:79], v[32:33], -v[52:53]
	v_add_f64 v[86:87], v[46:47], v[44:45]
	v_add_f64 v[52:53], v[52:53], -v[28:29]
	v_add_f64 v[89:90], v[99:100], v[62:63]
	v_add_f64 v[107:108], v[62:63], -v[38:39]
	v_add_f64 v[62:63], v[99:100], -v[62:63]
	v_add_f64 v[99:100], v[38:39], -v[99:100]
	v_add_f64 v[91:92], v[84:85], v[91:92]
	v_fma_f64 v[16:17], v[115:116], v[16:17], v[93:94]
	v_add_f64 v[84:85], v[34:35], -v[54:55]
	v_add_f64 v[54:55], v[54:55], -v[30:31]
	;; [unrolled: 1-line block ×7, first 2 shown]
	v_add_f64 v[103:104], v[4:5], v[6:7]
	ds_load_b128 v[4:7], v88
	ds_load_b128 v[12:15], v88 offset:832
	v_add_f64 v[95:96], v[95:96], v[8:9]
	s_waitcnt lgkmcnt(0)
	s_barrier
	buffer_gl0_inv
	v_mul_f64 v[66:67], v[66:67], s[2:3]
	v_mul_f64 v[109:110], v[105:106], s[0:1]
	v_mul_f64 v[74:75], v[74:75], s[2:3]
	v_add_f64 v[28:29], v[10:11], v[28:29]
	v_add_f64 v[10:11], v[36:37], -v[56:57]
	v_add_f64 v[30:31], v[50:51], v[30:31]
	v_add_f64 v[50:51], v[64:65], -v[58:59]
	v_add_f64 v[64:65], v[48:49], -v[64:65]
	;; [unrolled: 1-line block ×4, first 2 shown]
	v_add_f64 v[86:87], v[101:102], v[86:87]
	v_mul_f64 v[101:102], v[76:77], s[0:1]
	v_mul_f64 v[78:79], v[78:79], s[16:17]
	v_add_f64 v[38:39], v[38:39], v[89:90]
	v_mul_f64 v[89:90], v[52:53], s[14:15]
	v_add_f64 v[48:49], v[97:98], v[48:49]
	v_mul_f64 v[97:98], v[107:108], s[2:3]
	v_add_f64 v[36:37], v[8:9], -v[36:37]
	v_mul_f64 v[84:85], v[84:85], s[16:17]
	v_mul_f64 v[8:9], v[54:55], s[14:15]
	;; [unrolled: 1-line block ×4, first 2 shown]
	v_add_f64 v[4:5], v[4:5], v[103:104]
	v_add_f64 v[6:7], v[6:7], v[91:92]
	v_fma_f64 v[105:106], v[105:106], s[0:1], v[66:67]
	v_fma_f64 v[109:110], v[70:71], s[10:11], -v[109:110]
	v_fma_f64 v[66:67], v[70:71], s[12:13], -v[66:67]
	v_mul_f64 v[70:71], v[99:100], s[0:1]
	v_fma_f64 v[76:77], v[76:77], s[0:1], v[74:75]
	v_mul_f64 v[111:112], v[10:11], s[16:17]
	v_mul_f64 v[50:51], v[50:51], s[16:17]
	v_fma_f64 v[101:102], v[72:73], s[10:11], -v[101:102]
	v_fma_f64 v[72:73], v[72:73], s[12:13], -v[74:75]
	v_mul_f64 v[74:75], v[56:57], s[14:15]
	v_fma_f64 v[52:53], v[52:53], s[14:15], -v[78:79]
	v_fma_f64 v[78:79], v[32:33], s[18:19], v[78:79]
	v_fma_f64 v[32:33], v[32:33], s[20:21], -v[89:90]
	v_add_f64 v[10:11], v[14:15], v[38:39]
	v_fma_f64 v[14:15], v[99:100], s[0:1], v[97:98]
	v_add_f64 v[89:90], v[20:21], v[68:69]
	v_fma_f64 v[54:55], v[54:55], s[14:15], -v[84:85]
	v_fma_f64 v[84:85], v[34:35], s[18:19], v[84:85]
	v_fma_f64 v[34:35], v[34:35], s[20:21], -v[8:9]
	v_add_f64 v[8:9], v[12:13], v[86:87]
	v_fma_f64 v[12:13], v[46:47], s[0:1], v[44:45]
	v_fma_f64 v[46:47], v[93:94], s[10:11], -v[107:108]
	v_fma_f64 v[44:45], v[93:94], s[12:13], -v[44:45]
	v_add_f64 v[93:94], v[22:23], v[60:61]
	v_add_f64 v[99:100], v[42:43], v[26:27]
	v_add_f64 v[26:27], v[42:43], -v[26:27]
	v_add_f64 v[42:43], v[82:83], v[18:19]
	v_add_f64 v[18:19], v[18:19], -v[82:83]
	v_mul_f64 v[82:83], v[58:59], s[14:15]
	v_add_f64 v[20:21], v[20:21], -v[68:69]
	v_add_f64 v[22:23], v[22:23], -v[60:61]
	v_fma_f64 v[70:71], v[62:63], s[10:11], -v[70:71]
	v_fma_f64 v[62:63], v[62:63], s[12:13], -v[97:98]
	v_add_f64 v[97:98], v[40:41], v[24:25]
	v_fma_f64 v[107:108], v[36:37], s[18:19], v[111:112]
	v_add_f64 v[24:25], v[40:41], -v[24:25]
	v_add_f64 v[40:41], v[80:81], v[16:17]
	v_add_f64 v[16:17], v[16:17], -v[80:81]
	v_fma_f64 v[58:59], v[58:59], s[14:15], -v[50:51]
	v_fma_f64 v[50:51], v[64:65], s[18:19], v[50:51]
	v_fma_f64 v[56:57], v[56:57], s[14:15], -v[111:112]
	v_fma_f64 v[36:37], v[36:37], s[20:21], -v[74:75]
	v_add_f64 v[80:81], v[99:100], v[93:94]
	v_add_f64 v[60:61], v[18:19], v[26:27]
	v_fma_f64 v[64:65], v[64:65], s[20:21], -v[82:83]
	v_add_f64 v[74:75], v[97:98], v[89:90]
	v_add_f64 v[82:83], v[89:90], -v[40:41]
	v_add_f64 v[68:69], v[16:17], v[24:25]
	v_add_f64 v[89:90], v[97:98], -v[89:90]
	v_add_f64 v[80:81], v[42:43], v[80:81]
	v_add_f64 v[74:75], v[40:41], v[74:75]
	v_add_f64 v[40:41], v[40:41], -v[97:98]
	v_add_f64 v[97:98], v[99:100], -v[93:94]
	;; [unrolled: 1-line block ×7, first 2 shown]
	v_add_f64 v[20:21], v[68:69], v[20:21]
	v_add_f64 v[68:69], v[18:19], -v[26:27]
	v_add_f64 v[18:19], v[22:23], -v[18:19]
	;; [unrolled: 1-line block ×3, first 2 shown]
	v_add_f64 v[22:23], v[60:61], v[22:23]
	v_mul_f64 v[60:61], v[82:83], s[2:3]
	v_add_f64 v[2:3], v[2:3], v[80:81]
	v_add_f64 v[0:1], v[0:1], v[74:75]
	v_mul_f64 v[82:83], v[40:41], s[0:1]
	v_mul_f64 v[93:94], v[93:94], s[2:3]
	s_mov_b32 s2, 0xaaaaaaaa
	v_mul_f64 v[99:100], v[99:100], s[16:17]
	s_mov_b32 s3, 0xbff2aaaa
	s_delay_alu instid0(SALU_CYCLE_1)
	v_fma_f64 v[103:104], v[103:104], s[2:3], v[4:5]
	v_mul_f64 v[68:69], v[68:69], s[16:17]
	v_fma_f64 v[91:92], v[91:92], s[2:3], v[6:7]
	v_fma_f64 v[86:87], v[86:87], s[2:3], v[8:9]
	;; [unrolled: 1-line block ×4, first 2 shown]
	v_fma_f64 v[60:61], v[89:90], s[12:13], -v[60:61]
	v_fma_f64 v[80:81], v[80:81], s[2:3], v[2:3]
	v_fma_f64 v[74:75], v[74:75], s[2:3], v[0:1]
	v_fma_f64 v[82:83], v[89:90], s[10:11], -v[82:83]
	v_mul_f64 v[89:90], v[24:25], s[14:15]
	s_mov_b32 s3, 0x3febb67a
	v_fma_f64 v[24:25], v[24:25], s[14:15], -v[99:100]
	v_fma_f64 v[99:100], v[16:17], s[18:19], v[99:100]
	v_add_f64 v[66:67], v[66:67], v[103:104]
	v_add_f64 v[76:77], v[76:77], v[91:92]
	;; [unrolled: 1-line block ×8, first 2 shown]
	v_fma_f64 v[16:17], v[16:17], s[20:21], -v[89:90]
	v_mul_f64 v[89:90], v[26:27], s[14:15]
	v_fma_f64 v[26:27], v[26:27], s[14:15], -v[68:69]
	v_fma_f64 v[68:69], v[18:19], s[18:19], v[68:69]
	s_delay_alu instid0(VALU_DEP_3)
	v_fma_f64 v[18:19], v[18:19], s[20:21], -v[89:90]
	v_mul_f64 v[89:90], v[42:43], s[0:1]
	v_fma_f64 v[42:43], v[42:43], s[0:1], v[93:94]
	s_mov_b32 s0, 0x37c3f68c
	s_mov_b32 s1, 0xbfdc38aa
	v_fma_f64 v[93:94], v[97:98], s[12:13], -v[93:94]
	v_fma_f64 v[84:85], v[30:31], s[0:1], v[84:85]
	v_fma_f64 v[78:79], v[28:29], s[0:1], v[78:79]
	v_fma_f64 v[34:35], v[30:31], s[0:1], v[34:35]
	v_fma_f64 v[32:33], v[28:29], s[0:1], v[32:33]
	v_fma_f64 v[30:31], v[30:31], s[0:1], v[54:55]
	v_fma_f64 v[28:29], v[28:29], s[0:1], v[52:53]
	v_add_f64 v[52:53], v[46:47], v[86:87]
	v_add_f64 v[54:55], v[70:71], v[38:39]
	;; [unrolled: 1-line block ×3, first 2 shown]
	v_fma_f64 v[86:87], v[48:49], s[0:1], v[50:51]
	v_fma_f64 v[107:108], v[95:96], s[0:1], v[107:108]
	;; [unrolled: 1-line block ×10, first 2 shown]
	v_fma_f64 v[89:90], v[97:98], s[10:11], -v[89:90]
	v_add_f64 v[97:98], v[105:106], v[103:104]
	v_add_f64 v[105:106], v[109:110], v[103:104]
	;; [unrolled: 1-line block ×3, first 2 shown]
	v_fma_f64 v[109:110], v[95:96], s[0:1], v[36:37]
	v_add_f64 v[95:96], v[40:41], v[74:75]
	v_add_f64 v[14:15], v[76:77], -v[78:79]
	v_add_f64 v[16:17], v[34:35], v[66:67]
	v_add_f64 v[18:19], v[72:73], -v[32:33]
	v_fma_f64 v[74:75], v[20:21], s[0:1], v[24:25]
	v_add_f64 v[22:23], v[28:29], v[101:102]
	v_add_f64 v[26:27], v[101:102], -v[28:29]
	v_add_f64 v[28:29], v[66:67], -v[34:35]
	v_add_f64 v[34:35], v[78:79], v[76:77]
	v_add_f64 v[36:37], v[86:87], v[91:92]
	;; [unrolled: 1-line block ×4, first 2 shown]
	v_add_f64 v[44:45], v[52:53], -v[48:49]
	v_add_f64 v[46:47], v[50:51], v[54:55]
	v_add_f64 v[48:49], v[48:49], v[52:53]
	v_add_f64 v[50:51], v[54:55], -v[50:51]
	v_add_f64 v[52:53], v[70:71], -v[64:65]
	;; [unrolled: 1-line block ×3, first 2 shown]
	v_add_f64 v[93:94], v[93:94], v[80:81]
	v_add_f64 v[68:69], v[82:83], -v[121:122]
	s_mov_b32 s0, 0xe8584caa
	s_mov_b32 s1, 0xbfebb67a
	;; [unrolled: 1-line block ×3, first 2 shown]
	s_mul_hi_u32 s10, s4, 0x222
	v_add_f64 v[64:65], v[117:118], v[113:114]
	v_add_f64 v[80:81], v[89:90], v[80:81]
	;; [unrolled: 1-line block ×3, first 2 shown]
	v_add_f64 v[20:21], v[105:106], -v[30:31]
	v_add_f64 v[24:25], v[30:31], v[105:106]
	v_add_f64 v[30:31], v[32:33], v[72:73]
	v_add_f64 v[32:33], v[97:98], -v[84:85]
	v_add_f64 v[38:39], v[103:104], -v[107:108]
	v_add_f64 v[42:43], v[62:63], -v[109:110]
	v_add_f64 v[54:55], v[109:110], v[62:63]
	v_add_f64 v[58:59], v[107:108], v[103:104]
	ds_store_b128 v88, v[4:7]
	ds_store_b128 v88, v[12:15] offset:832
	ds_store_b128 v88, v[16:19] offset:1664
	;; [unrolled: 1-line block ×13, first 2 shown]
	scratch_load_b32 v4, off, off offset:780 ; 4-byte Folded Reload
	v_add_f64 v[60:61], v[115:116], v[95:96]
	v_add_f64 v[62:63], v[111:112], -v[99:100]
	v_add_f64 v[66:67], v[93:94], -v[119:120]
	v_add_f64 v[70:71], v[74:75], v[80:81]
	v_add_f64 v[72:73], v[121:122], v[82:83]
	v_add_f64 v[74:75], v[80:81], -v[74:75]
	v_add_f64 v[76:77], v[113:114], -v[117:118]
	v_add_f64 v[78:79], v[119:120], v[93:94]
	v_add_f64 v[80:81], v[95:96], -v[115:116]
	v_add_f64 v[82:83], v[99:100], v[111:112]
	s_waitcnt vmcnt(0)
	ds_store_b128 v4, v[0:3] offset:11648
	ds_store_b128 v4, v[60:63] offset:12480
	;; [unrolled: 1-line block ×7, first 2 shown]
	s_waitcnt lgkmcnt(0)
	s_barrier
	buffer_gl0_inv
	ds_load_b128 v[0:3], v88 offset:5824
	ds_load_b128 v[4:7], v88 offset:11648
	;; [unrolled: 1-line block ×8, first 2 shown]
	scratch_load_b128 v[111:114], off, off offset:4 ; 16-byte Folded Reload
	ds_load_b128 v[32:35], v88 offset:14144
	ds_load_b128 v[36:39], v88 offset:9152
	;; [unrolled: 1-line block ×4, first 2 shown]
	s_waitcnt vmcnt(0) lgkmcnt(11)
	v_mul_f64 v[60:61], v[113:114], v[2:3]
	v_mul_f64 v[62:63], v[113:114], v[0:1]
	scratch_load_b128 v[113:116], off, off offset:644 ; 16-byte Folded Reload
	ds_load_b128 v[48:51], v88 offset:9984
	ds_load_b128 v[52:55], v88 offset:10816
	;; [unrolled: 1-line block ×3, first 2 shown]
	s_clause 0x5
	scratch_load_b128 v[119:122], off, off offset:908
	scratch_load_b128 v[125:128], off, off offset:940
	;; [unrolled: 1-line block ×6, first 2 shown]
	v_fma_f64 v[60:61], v[111:112], v[0:1], v[60:61]
	v_fma_f64 v[62:63], v[111:112], v[2:3], -v[62:63]
	s_waitcnt vmcnt(6) lgkmcnt(13)
	v_mul_f64 v[64:65], v[115:116], v[6:7]
	v_mul_f64 v[66:67], v[115:116], v[4:5]
	scratch_load_b128 v[115:118], off, off offset:892 ; 16-byte Folded Reload
	s_waitcnt vmcnt(6) lgkmcnt(11)
	v_mul_f64 v[70:71], v[121:122], v[14:15]
	v_mul_f64 v[74:75], v[121:122], v[12:13]
	scratch_load_b128 v[121:124], off, off offset:924 ; 16-byte Folded Reload
	;; [unrolled: 4-line block ×6, first 2 shown]
	s_waitcnt vmcnt(6) lgkmcnt(0)
	v_mul_f64 v[109:110], v[151:152], v[58:59]
	v_mul_f64 v[111:112], v[151:152], v[56:57]
	v_fma_f64 v[64:65], v[113:114], v[4:5], v[64:65]
	v_fma_f64 v[66:67], v[113:114], v[6:7], -v[66:67]
	ds_load_b128 v[4:7], v88 offset:832
	v_fma_f64 v[70:71], v[119:120], v[12:13], v[70:71]
	v_fma_f64 v[74:75], v[119:120], v[14:15], -v[74:75]
	ds_load_b128 v[12:15], v88 offset:2496
	v_fma_f64 v[78:79], v[125:126], v[20:21], v[78:79]
	v_fma_f64 v[82:83], v[125:126], v[22:23], -v[82:83]
	s_waitcnt vmcnt(5)
	v_mul_f64 v[68:69], v[117:118], v[10:11]
	v_mul_f64 v[72:73], v[117:118], v[8:9]
	s_waitcnt vmcnt(4)
	v_mul_f64 v[76:77], v[123:124], v[18:19]
	v_mul_f64 v[80:81], v[123:124], v[16:17]
	;; [unrolled: 3-line block ×6, first 2 shown]
	v_fma_f64 v[68:69], v[115:116], v[8:9], v[68:69]
	v_fma_f64 v[72:73], v[115:116], v[10:11], -v[72:73]
	ds_load_b128 v[8:11], v88 offset:1664
	v_fma_f64 v[76:77], v[121:122], v[16:17], v[76:77]
	v_fma_f64 v[80:81], v[121:122], v[18:19], -v[80:81]
	v_fma_f64 v[24:25], v[127:128], v[24:25], v[84:85]
	v_fma_f64 v[84:85], v[131:132], v[32:33], v[86:87]
	v_fma_f64 v[26:27], v[127:128], v[26:27], -v[89:90]
	v_fma_f64 v[86:87], v[131:132], v[34:35], -v[91:92]
	v_fma_f64 v[32:33], v[133:134], v[36:37], v[93:94]
	v_fma_f64 v[89:90], v[137:138], v[40:41], v[95:96]
	v_fma_f64 v[34:35], v[133:134], v[38:39], -v[97:98]
	v_fma_f64 v[91:92], v[137:138], v[42:43], -v[99:100]
	v_fma_f64 v[36:37], v[139:140], v[48:49], v[101:102]
	v_fma_f64 v[93:94], v[143:144], v[44:45], v[103:104]
	v_fma_f64 v[38:39], v[139:140], v[50:51], -v[105:106]
	v_fma_f64 v[95:96], v[143:144], v[46:47], -v[107:108]
	v_fma_f64 v[40:41], v[145:146], v[52:53], v[0:1]
	v_fma_f64 v[97:98], v[149:150], v[56:57], v[109:110]
	v_fma_f64 v[42:43], v[145:146], v[54:55], -v[2:3]
	v_fma_f64 v[99:100], v[149:150], v[58:59], -v[111:112]
	ds_load_b128 v[0:3], v88
	v_add_f64 v[44:45], v[60:61], v[64:65]
	v_add_f64 v[46:47], v[62:63], v[66:67]
	ds_load_b128 v[16:19], v88 offset:3328
	ds_load_b128 v[20:23], v88 offset:4160
	v_add_f64 v[109:110], v[62:63], -v[66:67]
	v_add_f64 v[48:49], v[68:69], v[70:71]
	v_add_f64 v[50:51], v[72:73], v[74:75]
	v_add_f64 v[117:118], v[72:73], -v[74:75]
	v_add_f64 v[52:53], v[76:77], v[78:79]
	v_add_f64 v[54:55], v[80:81], v[82:83]
	s_waitcnt lgkmcnt(3)
	v_add_f64 v[121:122], v[8:9], v[76:77]
	v_add_f64 v[123:124], v[80:81], -v[82:83]
	v_add_f64 v[56:57], v[24:25], v[84:85]
	v_add_f64 v[80:81], v[10:11], v[80:81]
	;; [unrolled: 1-line block ×7, first 2 shown]
	v_add_f64 v[76:77], v[76:77], -v[78:79]
	v_add_f64 v[107:108], v[36:37], v[93:94]
	v_add_f64 v[127:128], v[26:27], -v[86:87]
	v_add_f64 v[111:112], v[38:39], v[95:96]
	v_add_f64 v[131:132], v[24:25], -v[84:85]
	v_add_f64 v[135:136], v[34:35], -v[91:92]
	;; [unrolled: 1-line block ×5, first 2 shown]
	s_waitcnt lgkmcnt(1)
	v_add_f64 v[133:134], v[16:17], v[32:33]
	v_add_f64 v[137:138], v[18:19], v[34:35]
	;; [unrolled: 1-line block ×6, first 2 shown]
	v_add_f64 v[60:61], v[60:61], -v[64:65]
	v_fma_f64 v[44:45], v[44:45], -0.5, v[0:1]
	v_fma_f64 v[46:47], v[46:47], -0.5, v[2:3]
	v_add_f64 v[68:69], v[68:69], -v[70:71]
	s_waitcnt lgkmcnt(0)
	v_add_f64 v[141:142], v[20:21], v[36:37]
	v_add_f64 v[145:146], v[22:23], v[38:39]
	;; [unrolled: 1-line block ×5, first 2 shown]
	v_fma_f64 v[48:49], v[48:49], -0.5, v[4:5]
	v_fma_f64 v[50:51], v[50:51], -0.5, v[6:7]
	v_add_f64 v[153:154], v[30:31], v[42:43]
	v_fma_f64 v[52:53], v[52:53], -0.5, v[8:9]
	v_fma_f64 v[54:55], v[54:55], -0.5, v[10:11]
	v_add_f64 v[151:152], v[42:43], -v[99:100]
	v_add_f64 v[155:156], v[40:41], -v[97:98]
	v_fma_f64 v[56:57], v[56:57], -0.5, v[12:13]
	v_add_f64 v[8:9], v[121:122], v[78:79]
	v_fma_f64 v[58:59], v[58:59], -0.5, v[14:15]
	v_add_f64 v[10:11], v[80:81], v[82:83]
	v_fma_f64 v[101:102], v[101:102], -0.5, v[16:17]
	v_add_f64 v[36:37], v[125:126], v[84:85]
	v_fma_f64 v[103:104], v[103:104], -0.5, v[18:19]
	v_add_f64 v[38:39], v[129:130], v[86:87]
	v_fma_f64 v[107:108], v[107:108], -0.5, v[20:21]
	v_fma_f64 v[111:112], v[111:112], -0.5, v[22:23]
	v_add_f64 v[0:1], v[105:106], v[64:65]
	v_add_f64 v[4:5], v[113:114], v[70:71]
	;; [unrolled: 1-line block ×4, first 2 shown]
	v_fma_f64 v[16:17], v[109:110], s[2:3], v[44:45]
	v_fma_f64 v[18:19], v[60:61], s[0:1], v[46:47]
	;; [unrolled: 1-line block ×4, first 2 shown]
	v_add_f64 v[60:61], v[141:142], v[93:94]
	v_add_f64 v[62:63], v[145:146], v[95:96]
	v_fma_f64 v[105:106], v[115:116], -0.5, v[28:29]
	v_fma_f64 v[113:114], v[119:120], -0.5, v[30:31]
	v_fma_f64 v[24:25], v[117:118], s[2:3], v[48:49]
	v_fma_f64 v[26:27], v[68:69], s[0:1], v[50:51]
	v_fma_f64 v[20:21], v[117:118], s[0:1], v[48:49]
	v_fma_f64 v[22:23], v[68:69], s[2:3], v[50:51]
	v_fma_f64 v[28:29], v[123:124], s[0:1], v[52:53]
	v_fma_f64 v[30:31], v[76:77], s[2:3], v[54:55]
	v_fma_f64 v[32:33], v[123:124], s[2:3], v[52:53]
	v_fma_f64 v[34:35], v[76:77], s[0:1], v[54:55]
	v_fma_f64 v[44:45], v[127:128], s[2:3], v[56:57]
	v_fma_f64 v[46:47], v[131:132], s[0:1], v[58:59]
	v_fma_f64 v[40:41], v[127:128], s[0:1], v[56:57]
	v_fma_f64 v[42:43], v[131:132], s[2:3], v[58:59]
	v_fma_f64 v[52:53], v[135:136], s[0:1], v[101:102]
	v_fma_f64 v[54:55], v[139:140], s[2:3], v[103:104]
	v_add_f64 v[48:49], v[133:134], v[89:90]
	v_add_f64 v[50:51], v[137:138], v[91:92]
	v_fma_f64 v[56:57], v[135:136], s[2:3], v[101:102]
	v_fma_f64 v[58:59], v[139:140], s[0:1], v[103:104]
	v_fma_f64 v[68:69], v[143:144], s[2:3], v[107:108]
	v_fma_f64 v[70:71], v[147:148], s[0:1], v[111:112]
	v_add_f64 v[72:73], v[149:150], v[97:98]
	v_add_f64 v[74:75], v[153:154], v[99:100]
	v_fma_f64 v[64:65], v[143:144], s[0:1], v[107:108]
	v_fma_f64 v[66:67], v[147:148], s[2:3], v[111:112]
	;; [unrolled: 1-line block ×6, first 2 shown]
	s_mul_i32 s1, s5, 0x222
	s_mul_i32 s0, s4, 0x222
	s_mov_b32 s2, 0x1e01e01e
	s_mov_b32 s3, 0x3f4e01e0
	s_add_i32 s1, s10, s1
	ds_store_b128 v88, v[0:3]
	ds_store_b128 v88, v[4:7] offset:832
	ds_store_b128 v88, v[8:11] offset:1664
	;; [unrolled: 1-line block ×20, first 2 shown]
	s_waitcnt lgkmcnt(0)
	s_barrier
	buffer_gl0_inv
	ds_load_b128 v[0:3], v88
	ds_load_b128 v[4:7], v88 offset:8736
	ds_load_b128 v[8:11], v88 offset:832
	;; [unrolled: 1-line block ×5, first 2 shown]
	s_clause 0x5
	scratch_load_b128 v[73:76], off, off offset:516
	scratch_load_b128 v[61:64], off, off offset:244
	;; [unrolled: 1-line block ×4, first 2 shown]
	scratch_load_b64 v[28:29], off, off offset:204
	scratch_load_b32 v60, off, off
	ds_load_b128 v[24:27], v88 offset:10400
	scratch_load_b128 v[78:81], off, off offset:436 ; 16-byte Folded Reload
	s_waitcnt vmcnt(6) lgkmcnt(5)
	v_mul_f64 v[36:37], v[75:76], v[6:7]
	v_mul_f64 v[38:39], v[75:76], v[4:5]
	s_waitcnt vmcnt(4) lgkmcnt(3)
	v_mul_f64 v[44:45], v[71:72], v[14:15]
	v_mul_f64 v[46:47], v[71:72], v[12:13]
	s_waitcnt vmcnt(2)
	v_mov_b32_e32 v29, v28
	s_waitcnt vmcnt(1)
	v_mad_u64_u32 v[54:55], null, s4, v60, 0
	s_delay_alu instid0(VALU_DEP_2) | instskip(SKIP_1) | instid1(VALU_DEP_1)
	v_mad_u64_u32 v[52:53], null, s6, v29, 0
	s_mul_i32 s6, s4, 0xfffffe12
	v_dual_mov_b32 v28, v53 :: v_dual_mov_b32 v53, v55
	s_delay_alu instid0(VALU_DEP_1)
	v_mad_u64_u32 v[55:56], null, s7, v29, v[28:29]
	ds_load_b128 v[28:31], v88 offset:11232
	s_waitcnt lgkmcnt(1)
	v_mul_f64 v[56:57], v[84:85], v[26:27]
	v_mul_f64 v[58:59], v[84:85], v[24:25]
	s_mul_i32 s7, s5, 0xfffffe12
	v_fma_f64 v[36:37], v[73:74], v[4:5], v[36:37]
	v_fma_f64 v[38:39], v[73:74], v[6:7], -v[38:39]
	scratch_load_b128 v[72:75], off, off offset:340 ; 16-byte Folded Reload
	v_mul_f64 v[32:33], v[63:64], v[2:3]
	v_mul_f64 v[34:35], v[63:64], v[0:1]
	scratch_load_b128 v[63:66], off, off offset:324 ; 16-byte Folded Reload
	v_mad_u64_u32 v[4:5], null, s5, v60, v[53:54]
	v_mov_b32_e32 v53, v55
	v_fma_f64 v[44:45], v[69:70], v[12:13], v[44:45]
	v_fma_f64 v[46:47], v[69:70], v[14:15], -v[46:47]
	s_mul_hi_u32 s5, s4, 0xfffffe12
	s_delay_alu instid0(SALU_CYCLE_1)
	s_sub_i32 s10, s5, s4
	s_lshl_b64 s[4:5], s[0:1], 4
	s_add_i32 s7, s10, s7
	v_mov_b32_e32 v55, v4
	s_lshl_b64 s[6:7], s[6:7], 4
	ds_load_b128 v[4:7], v88 offset:4160
	v_lshlrev_b64 v[54:55], 4, v[54:55]
	v_fma_f64 v[56:57], v[82:83], v[24:25], v[56:57]
	v_fma_f64 v[58:59], v[82:83], v[26:27], -v[58:59]
	v_mul_f64 v[12:13], v[36:37], s[2:3]
	v_mul_f64 v[14:15], v[38:39], s[2:3]
	ds_load_b128 v[36:39], v88 offset:12064
	v_fma_f64 v[32:33], v[61:62], v[0:1], v[32:33]
	v_fma_f64 v[34:35], v[61:62], v[2:3], -v[34:35]
	ds_load_b128 v[0:3], v88 offset:3328
	v_mul_f64 v[24:25], v[44:45], s[2:3]
	v_mul_f64 v[26:27], v[46:47], s[2:3]
	s_waitcnt vmcnt(1)
	v_mul_f64 v[60:61], v[74:75], v[20:21]
	s_waitcnt vmcnt(0)
	v_mul_f64 v[40:41], v[65:66], v[10:11]
	v_mul_f64 v[42:43], v[65:66], v[8:9]
	scratch_load_b128 v[65:68], off, off offset:404 ; 16-byte Folded Reload
	v_fma_f64 v[40:41], v[63:64], v[8:9], v[40:41]
	v_lshlrev_b64 v[8:9], 4, v[52:53]
	v_mul_f64 v[52:53], v[74:75], v[22:23]
	scratch_load_b128 v[74:77], off, off offset:388 ; 16-byte Folded Reload
	v_fma_f64 v[42:43], v[63:64], v[10:11], -v[42:43]
	s_waitcnt lgkmcnt(3)
	v_mul_f64 v[62:63], v[80:81], v[30:31]
	v_mul_f64 v[10:11], v[34:35], s[2:3]
	v_add_co_u32 v70, s0, s8, v8
	s_delay_alu instid0(VALU_DEP_1)
	v_add_co_ci_u32_e64 v71, s0, s9, v9, s0
	v_mul_f64 v[8:9], v[32:33], s[2:3]
	v_fma_f64 v[46:47], v[72:73], v[20:21], v[52:53]
	v_fma_f64 v[52:53], v[72:73], v[22:23], -v[60:61]
	s_waitcnt vmcnt(1)
	v_mul_f64 v[48:49], v[67:68], v[18:19]
	v_mul_f64 v[50:51], v[67:68], v[16:17]
	s_delay_alu instid0(VALU_DEP_2) | instskip(NEXT) | instid1(VALU_DEP_2)
	v_fma_f64 v[48:49], v[65:66], v[16:17], v[48:49]
	v_fma_f64 v[50:51], v[65:66], v[18:19], -v[50:51]
	v_mul_f64 v[64:65], v[80:81], v[28:29]
	s_waitcnt vmcnt(0) lgkmcnt(0)
	v_mul_f64 v[66:67], v[76:77], v[2:3]
	v_mul_f64 v[68:69], v[76:77], v[0:1]
	;; [unrolled: 1-line block ×4, first 2 shown]
	v_add_co_u32 v40, s0, v70, v54
	s_delay_alu instid0(VALU_DEP_1) | instskip(SKIP_2) | instid1(VALU_DEP_4)
	v_add_co_ci_u32_e64 v41, s0, v71, v55, s0
	v_fma_f64 v[54:55], v[78:79], v[28:29], v[62:63]
	v_mul_f64 v[28:29], v[56:57], s[2:3]
	v_add_co_u32 v42, s0, v40, s4
	s_delay_alu instid0(VALU_DEP_1) | instskip(NEXT) | instid1(VALU_DEP_2)
	v_add_co_ci_u32_e64 v43, s0, s5, v41, s0
	v_add_co_u32 v44, s0, v42, s6
	s_delay_alu instid0(VALU_DEP_1) | instskip(SKIP_2) | instid1(VALU_DEP_4)
	v_add_co_ci_u32_e64 v45, s0, s7, v43, s0
	v_mul_f64 v[32:33], v[48:49], s[2:3]
	v_mul_f64 v[34:35], v[50:51], s[2:3]
	v_add_co_u32 v48, s0, v44, s4
	v_fma_f64 v[60:61], v[78:79], v[30:31], -v[64:65]
	v_fma_f64 v[62:63], v[74:75], v[0:1], v[66:67]
	v_fma_f64 v[64:65], v[74:75], v[2:3], -v[68:69]
	ds_load_b128 v[0:3], v88 offset:12896
	ds_load_b128 v[20:23], v88 offset:13728
	s_clause 0x1
	scratch_load_b128 v[111:114], off, off offset:228
	scratch_load_b128 v[107:110], off, off offset:212
	global_store_b128 v[40:41], v[8:11], off
	ds_load_b128 v[8:11], v88 offset:4992
	v_mul_f64 v[30:31], v[58:59], s[2:3]
	v_add_co_ci_u32_e64 v49, s0, s5, v45, s0
	v_add_co_u32 v50, s0, v48, s6
	s_delay_alu instid0(VALU_DEP_1) | instskip(NEXT) | instid1(VALU_DEP_2)
	v_add_co_ci_u32_e64 v51, s0, s7, v49, s0
	v_add_co_u32 v74, s0, v50, s4
	s_clause 0x3
	global_store_b128 v[42:43], v[12:15], off
	global_store_b128 v[44:45], v[16:19], off
	;; [unrolled: 1-line block ×4, first 2 shown]
	v_add_co_ci_u32_e64 v75, s0, s5, v51, s0
	v_mul_f64 v[44:45], v[46:47], s[2:3]
	v_mul_f64 v[46:47], v[52:53], s[2:3]
	;; [unrolled: 1-line block ×3, first 2 shown]
	ds_load_b128 v[12:15], v88 offset:5824
	ds_load_b128 v[16:19], v88 offset:14560
	scratch_load_b128 v[117:120], off, off offset:276 ; 16-byte Folded Reload
	ds_load_b128 v[32:35], v88 offset:15392
	ds_load_b128 v[48:51], v88 offset:16224
	;; [unrolled: 1-line block ×4, first 2 shown]
	v_mul_f64 v[58:59], v[64:65], s[2:3]
	v_mul_f64 v[54:55], v[60:61], s[2:3]
	;; [unrolled: 1-line block ×3, first 2 shown]
	scratch_load_b128 v[127:130], off, off offset:372 ; 16-byte Folded Reload
	s_waitcnt vmcnt(3)
	v_mul_f64 v[66:67], v[113:114], v[38:39]
	v_mul_f64 v[68:69], v[113:114], v[36:37]
	scratch_load_b128 v[113:116], off, off offset:260 ; 16-byte Folded Reload
	s_waitcnt vmcnt(3)
	v_mul_f64 v[70:71], v[109:110], v[6:7]
	v_mul_f64 v[72:73], v[109:110], v[4:5]
	s_waitcnt vmcnt(2) lgkmcnt(8)
	v_mul_f64 v[76:77], v[119:120], v[2:3]
	v_mul_f64 v[78:79], v[119:120], v[0:1]
	scratch_load_b128 v[119:122], off, off offset:292 ; 16-byte Folded Reload
	v_fma_f64 v[36:37], v[111:112], v[36:37], v[66:67]
	v_fma_f64 v[38:39], v[111:112], v[38:39], -v[68:69]
	v_add_co_u32 v66, s0, v74, s6
	v_fma_f64 v[4:5], v[107:108], v[4:5], v[70:71]
	v_fma_f64 v[6:7], v[107:108], v[6:7], -v[72:73]
	v_add_co_ci_u32_e64 v67, s0, s7, v75, s0
	s_delay_alu instid0(VALU_DEP_4)
	v_add_co_u32 v68, s0, v66, s4
	s_waitcnt vmcnt(2) lgkmcnt(4)
	v_mul_f64 v[64:65], v[129:130], v[18:19]
	v_mul_f64 v[89:90], v[129:130], v[16:17]
	scratch_load_b128 v[129:132], off, off offset:420 ; 16-byte Folded Reload
	v_add_co_ci_u32_e64 v69, s0, s5, v67, s0
	v_fma_f64 v[70:71], v[117:118], v[0:1], v[76:77]
	v_fma_f64 v[72:73], v[117:118], v[2:3], -v[78:79]
	v_add_co_u32 v76, s0, v68, s6
	s_delay_alu instid0(VALU_DEP_1)
	v_add_co_ci_u32_e64 v77, s0, s7, v69, s0
	v_mul_f64 v[0:1], v[36:37], s[2:3]
	v_mul_f64 v[2:3], v[38:39], s[2:3]
	;; [unrolled: 1-line block ×4, first 2 shown]
	s_waitcnt vmcnt(2)
	v_mul_f64 v[80:81], v[115:116], v[10:11]
	v_mul_f64 v[82:83], v[115:116], v[8:9]
	s_waitcnt vmcnt(1)
	v_mul_f64 v[84:85], v[121:122], v[22:23]
	v_mul_f64 v[86:87], v[121:122], v[20:21]
	scratch_load_b128 v[121:124], off, off offset:308 ; 16-byte Folded Reload
	v_fma_f64 v[78:79], v[113:114], v[8:9], v[80:81]
	v_fma_f64 v[80:81], v[113:114], v[10:11], -v[82:83]
	v_mul_f64 v[8:9], v[70:71], s[2:3]
	v_mul_f64 v[10:11], v[72:73], s[2:3]
	s_waitcnt vmcnt(1) lgkmcnt(3)
	v_mul_f64 v[95:96], v[131:132], v[34:35]
	v_mul_f64 v[97:98], v[131:132], v[32:33]
	scratch_load_b128 v[131:134], off, off offset:452 ; 16-byte Folded Reload
	v_fma_f64 v[20:21], v[119:120], v[20:21], v[84:85]
	v_fma_f64 v[22:23], v[119:120], v[22:23], -v[86:87]
	v_fma_f64 v[32:33], v[129:130], v[32:33], v[95:96]
	v_fma_f64 v[34:35], v[129:130], v[34:35], -v[97:98]
	s_delay_alu instid0(VALU_DEP_2) | instskip(NEXT) | instid1(VALU_DEP_2)
	v_mul_f64 v[32:33], v[32:33], s[2:3]
	v_mul_f64 v[34:35], v[34:35], s[2:3]
	s_waitcnt vmcnt(1)
	v_mul_f64 v[60:61], v[123:124], v[14:15]
	v_mul_f64 v[62:63], v[123:124], v[12:13]
	scratch_load_b128 v[123:126], off, off offset:356 ; 16-byte Folded Reload
	s_waitcnt vmcnt(1) lgkmcnt(0)
	v_mul_f64 v[99:100], v[133:134], v[42:43]
	v_mul_f64 v[101:102], v[133:134], v[40:41]
	scratch_load_b128 v[133:136], off, off offset:468 ; 16-byte Folded Reload
	global_store_b128 v[74:75], v[28:31], off
	global_store_b128 v[66:67], v[44:47], off
	;; [unrolled: 1-line block ×4, first 2 shown]
	v_fma_f64 v[44:45], v[127:128], v[16:17], v[64:65]
	v_fma_f64 v[46:47], v[127:128], v[18:19], -v[89:90]
	v_add_co_u32 v56, s0, v76, s4
	v_mul_f64 v[16:17], v[20:21], s[2:3]
	v_mul_f64 v[18:19], v[22:23], s[2:3]
	v_add_co_ci_u32_e64 v57, s0, s5, v77, s0
	s_delay_alu instid0(VALU_DEP_4) | instskip(NEXT) | instid1(VALU_DEP_1)
	v_add_co_u32 v58, s0, v56, s6
	v_add_co_ci_u32_e64 v59, s0, s7, v57, s0
	global_store_b128 v[56:57], v[0:3], off
	global_store_b128 v[58:59], v[4:7], off
	v_fma_f64 v[28:29], v[121:122], v[12:13], v[60:61]
	v_fma_f64 v[30:31], v[121:122], v[14:15], -v[62:63]
	v_add_co_u32 v60, s0, v58, s4
	s_delay_alu instid0(VALU_DEP_1) | instskip(SKIP_2) | instid1(VALU_DEP_4)
	v_add_co_ci_u32_e64 v61, s0, s5, v59, s0
	v_mul_f64 v[12:13], v[78:79], s[2:3]
	v_mul_f64 v[14:15], v[80:81], s[2:3]
	v_add_co_u32 v62, s0, v60, s6
	s_delay_alu instid0(VALU_DEP_1)
	v_add_co_ci_u32_e64 v63, s0, s7, v61, s0
	global_store_b128 v[60:61], v[8:11], off
	v_fma_f64 v[40:41], v[131:132], v[40:41], v[99:100]
	v_fma_f64 v[42:43], v[131:132], v[42:43], -v[101:102]
	v_mul_f64 v[20:21], v[28:29], s[2:3]
	v_mul_f64 v[22:23], v[30:31], s[2:3]
	global_store_b128 v[62:63], v[12:15], off
	v_mul_f64 v[36:37], v[40:41], s[2:3]
	v_mul_f64 v[38:39], v[42:43], s[2:3]
	s_waitcnt vmcnt(1)
	v_mul_f64 v[91:92], v[125:126], v[26:27]
	v_mul_f64 v[93:94], v[125:126], v[24:25]
	s_waitcnt vmcnt(0)
	v_mul_f64 v[103:104], v[135:136], v[50:51]
	v_mul_f64 v[105:106], v[135:136], v[48:49]
	s_delay_alu instid0(VALU_DEP_4) | instskip(NEXT) | instid1(VALU_DEP_4)
	v_fma_f64 v[52:53], v[123:124], v[24:25], v[91:92]
	v_fma_f64 v[54:55], v[123:124], v[26:27], -v[93:94]
	v_mul_f64 v[24:25], v[44:45], s[2:3]
	v_mul_f64 v[26:27], v[46:47], s[2:3]
	v_add_co_u32 v44, s0, v62, s4
	s_delay_alu instid0(VALU_DEP_1) | instskip(NEXT) | instid1(VALU_DEP_2)
	v_add_co_ci_u32_e64 v45, s0, s5, v63, s0
	v_add_co_u32 v0, s0, v44, s6
	s_delay_alu instid0(VALU_DEP_1) | instskip(SKIP_2) | instid1(VALU_DEP_1)
	v_add_co_ci_u32_e64 v1, s0, s7, v45, s0
	global_store_b128 v[44:45], v[16:19], off
	v_add_co_u32 v2, s0, v0, s4
	v_add_co_ci_u32_e64 v3, s0, s5, v1, s0
	global_store_b128 v[0:1], v[20:23], off
	v_add_co_u32 v4, s0, v2, s6
	s_delay_alu instid0(VALU_DEP_1) | instskip(SKIP_2) | instid1(VALU_DEP_4)
	v_add_co_ci_u32_e64 v5, s0, s7, v3, s0
	v_fma_f64 v[48:49], v[133:134], v[48:49], v[103:104]
	v_fma_f64 v[50:51], v[133:134], v[50:51], -v[105:106]
	v_add_co_u32 v6, s0, v4, s4
	s_delay_alu instid0(VALU_DEP_1) | instskip(NEXT) | instid1(VALU_DEP_2)
	v_add_co_ci_u32_e64 v7, s0, s5, v5, s0
	v_add_co_u32 v8, s0, v6, s6
	s_delay_alu instid0(VALU_DEP_1) | instskip(NEXT) | instid1(VALU_DEP_2)
	v_add_co_ci_u32_e64 v9, s0, s7, v7, s0
	v_add_co_u32 v0, s0, v8, s4
	s_delay_alu instid0(VALU_DEP_1)
	v_add_co_ci_u32_e64 v1, s0, s5, v9, s0
	v_mul_f64 v[28:29], v[52:53], s[2:3]
	v_mul_f64 v[30:31], v[54:55], s[2:3]
	;; [unrolled: 1-line block ×4, first 2 shown]
	global_store_b128 v[2:3], v[24:27], off
	global_store_b128 v[4:5], v[28:31], off
	;; [unrolled: 1-line block ×5, first 2 shown]
	s_and_b32 exec_lo, exec_lo, vcc_lo
	s_cbranch_execz .LBB0_31
; %bb.30:
	scratch_load_b64 v[2:3], off, off offset:196 ; 8-byte Folded Reload
	s_waitcnt vmcnt(0)
	global_load_b128 v[2:5], v[2:3], off offset:128
	ds_load_b128 v[6:9], v88 offset:8320
	ds_load_b128 v[10:13], v88 offset:17056
	s_waitcnt vmcnt(0) lgkmcnt(1)
	v_mul_f64 v[14:15], v[8:9], v[4:5]
	v_mul_f64 v[4:5], v[6:7], v[4:5]
	s_delay_alu instid0(VALU_DEP_2) | instskip(NEXT) | instid1(VALU_DEP_2)
	v_fma_f64 v[6:7], v[6:7], v[2:3], v[14:15]
	v_fma_f64 v[4:5], v[2:3], v[8:9], -v[4:5]
	s_delay_alu instid0(VALU_DEP_2)
	v_mul_f64 v[2:3], v[6:7], s[2:3]
	v_add_co_u32 v6, vcc_lo, v0, s6
	v_add_co_ci_u32_e32 v7, vcc_lo, s7, v1, vcc_lo
	scratch_load_b64 v[0:1], off, off offset:1084 ; 8-byte Folded Reload
	v_mul_f64 v[4:5], v[4:5], s[2:3]
	global_store_b128 v[6:7], v[2:5], off
	s_waitcnt vmcnt(0)
	global_load_b128 v[0:3], v[0:1], off offset:672
	s_waitcnt vmcnt(0) lgkmcnt(0)
	v_mul_f64 v[4:5], v[12:13], v[2:3]
	v_mul_f64 v[2:3], v[10:11], v[2:3]
	s_delay_alu instid0(VALU_DEP_2) | instskip(NEXT) | instid1(VALU_DEP_2)
	v_fma_f64 v[4:5], v[10:11], v[0:1], v[4:5]
	v_fma_f64 v[2:3], v[0:1], v[12:13], -v[2:3]
	s_delay_alu instid0(VALU_DEP_2) | instskip(NEXT) | instid1(VALU_DEP_2)
	v_mul_f64 v[0:1], v[4:5], s[2:3]
	v_mul_f64 v[2:3], v[2:3], s[2:3]
	v_add_co_u32 v4, vcc_lo, v6, s4
	v_add_co_ci_u32_e32 v5, vcc_lo, s5, v7, vcc_lo
	global_store_b128 v[4:5], v[0:3], off
.LBB0_31:
	s_nop 0
	s_sendmsg sendmsg(MSG_DEALLOC_VGPRS)
	s_endpgm
	.section	.rodata,"a",@progbits
	.p2align	6, 0x0
	.amdhsa_kernel bluestein_single_back_len1092_dim1_dp_op_CI_CI
		.amdhsa_group_segment_fixed_size 17472
		.amdhsa_private_segment_fixed_size 1208
		.amdhsa_kernarg_size 104
		.amdhsa_user_sgpr_count 15
		.amdhsa_user_sgpr_dispatch_ptr 0
		.amdhsa_user_sgpr_queue_ptr 0
		.amdhsa_user_sgpr_kernarg_segment_ptr 1
		.amdhsa_user_sgpr_dispatch_id 0
		.amdhsa_user_sgpr_private_segment_size 0
		.amdhsa_wavefront_size32 1
		.amdhsa_uses_dynamic_stack 0
		.amdhsa_enable_private_segment 1
		.amdhsa_system_sgpr_workgroup_id_x 1
		.amdhsa_system_sgpr_workgroup_id_y 0
		.amdhsa_system_sgpr_workgroup_id_z 0
		.amdhsa_system_sgpr_workgroup_info 0
		.amdhsa_system_vgpr_workitem_id 0
		.amdhsa_next_free_vgpr 256
		.amdhsa_next_free_sgpr 48
		.amdhsa_reserve_vcc 1
		.amdhsa_float_round_mode_32 0
		.amdhsa_float_round_mode_16_64 0
		.amdhsa_float_denorm_mode_32 3
		.amdhsa_float_denorm_mode_16_64 3
		.amdhsa_dx10_clamp 1
		.amdhsa_ieee_mode 1
		.amdhsa_fp16_overflow 0
		.amdhsa_workgroup_processor_mode 1
		.amdhsa_memory_ordered 1
		.amdhsa_forward_progress 0
		.amdhsa_shared_vgpr_count 0
		.amdhsa_exception_fp_ieee_invalid_op 0
		.amdhsa_exception_fp_denorm_src 0
		.amdhsa_exception_fp_ieee_div_zero 0
		.amdhsa_exception_fp_ieee_overflow 0
		.amdhsa_exception_fp_ieee_underflow 0
		.amdhsa_exception_fp_ieee_inexact 0
		.amdhsa_exception_int_div_zero 0
	.end_amdhsa_kernel
	.text
.Lfunc_end0:
	.size	bluestein_single_back_len1092_dim1_dp_op_CI_CI, .Lfunc_end0-bluestein_single_back_len1092_dim1_dp_op_CI_CI
                                        ; -- End function
	.section	.AMDGPU.csdata,"",@progbits
; Kernel info:
; codeLenInByte = 41432
; NumSgprs: 50
; NumVgprs: 256
; ScratchSize: 1208
; MemoryBound: 0
; FloatMode: 240
; IeeeMode: 1
; LDSByteSize: 17472 bytes/workgroup (compile time only)
; SGPRBlocks: 6
; VGPRBlocks: 31
; NumSGPRsForWavesPerEU: 50
; NumVGPRsForWavesPerEU: 256
; Occupancy: 4
; WaveLimiterHint : 1
; COMPUTE_PGM_RSRC2:SCRATCH_EN: 1
; COMPUTE_PGM_RSRC2:USER_SGPR: 15
; COMPUTE_PGM_RSRC2:TRAP_HANDLER: 0
; COMPUTE_PGM_RSRC2:TGID_X_EN: 1
; COMPUTE_PGM_RSRC2:TGID_Y_EN: 0
; COMPUTE_PGM_RSRC2:TGID_Z_EN: 0
; COMPUTE_PGM_RSRC2:TIDIG_COMP_CNT: 0
	.text
	.p2alignl 7, 3214868480
	.fill 96, 4, 3214868480
	.type	__hip_cuid_e215f1d6fc3e610,@object ; @__hip_cuid_e215f1d6fc3e610
	.section	.bss,"aw",@nobits
	.globl	__hip_cuid_e215f1d6fc3e610
__hip_cuid_e215f1d6fc3e610:
	.byte	0                               ; 0x0
	.size	__hip_cuid_e215f1d6fc3e610, 1

	.ident	"AMD clang version 19.0.0git (https://github.com/RadeonOpenCompute/llvm-project roc-6.4.0 25133 c7fe45cf4b819c5991fe208aaa96edf142730f1d)"
	.section	".note.GNU-stack","",@progbits
	.addrsig
	.addrsig_sym __hip_cuid_e215f1d6fc3e610
	.amdgpu_metadata
---
amdhsa.kernels:
  - .args:
      - .actual_access:  read_only
        .address_space:  global
        .offset:         0
        .size:           8
        .value_kind:     global_buffer
      - .actual_access:  read_only
        .address_space:  global
        .offset:         8
        .size:           8
        .value_kind:     global_buffer
      - .actual_access:  read_only
        .address_space:  global
        .offset:         16
        .size:           8
        .value_kind:     global_buffer
      - .actual_access:  read_only
        .address_space:  global
        .offset:         24
        .size:           8
        .value_kind:     global_buffer
      - .actual_access:  read_only
        .address_space:  global
        .offset:         32
        .size:           8
        .value_kind:     global_buffer
      - .offset:         40
        .size:           8
        .value_kind:     by_value
      - .address_space:  global
        .offset:         48
        .size:           8
        .value_kind:     global_buffer
      - .address_space:  global
        .offset:         56
        .size:           8
        .value_kind:     global_buffer
      - .address_space:  global
        .offset:         64
        .size:           8
        .value_kind:     global_buffer
      - .address_space:  global
        .offset:         72
        .size:           8
        .value_kind:     global_buffer
      - .offset:         80
        .size:           4
        .value_kind:     by_value
      - .address_space:  global
        .offset:         88
        .size:           8
        .value_kind:     global_buffer
      - .address_space:  global
        .offset:         96
        .size:           8
        .value_kind:     global_buffer
    .group_segment_fixed_size: 17472
    .kernarg_segment_align: 8
    .kernarg_segment_size: 104
    .language:       OpenCL C
    .language_version:
      - 2
      - 0
    .max_flat_workgroup_size: 52
    .name:           bluestein_single_back_len1092_dim1_dp_op_CI_CI
    .private_segment_fixed_size: 1208
    .sgpr_count:     50
    .sgpr_spill_count: 0
    .symbol:         bluestein_single_back_len1092_dim1_dp_op_CI_CI.kd
    .uniform_work_group_size: 1
    .uses_dynamic_stack: false
    .vgpr_count:     256
    .vgpr_spill_count: 373
    .wavefront_size: 32
    .workgroup_processor_mode: 1
amdhsa.target:   amdgcn-amd-amdhsa--gfx1100
amdhsa.version:
  - 1
  - 2
...

	.end_amdgpu_metadata
